;; amdgpu-corpus repo=ROCm/hipCUB kind=compiled arch=gfx1030 opt=O3
	.amdgcn_target "amdgcn-amd-amdhsa--gfx1030"
	.amdhsa_code_object_version 6
	.section	.text._Z16warp_load_kernelILj256ELj4ELj32ELN6hipcub17WarpLoadAlgorithmE0EiEvPT3_S3_,"axG",@progbits,_Z16warp_load_kernelILj256ELj4ELj32ELN6hipcub17WarpLoadAlgorithmE0EiEvPT3_S3_,comdat
	.protected	_Z16warp_load_kernelILj256ELj4ELj32ELN6hipcub17WarpLoadAlgorithmE0EiEvPT3_S3_ ; -- Begin function _Z16warp_load_kernelILj256ELj4ELj32ELN6hipcub17WarpLoadAlgorithmE0EiEvPT3_S3_
	.globl	_Z16warp_load_kernelILj256ELj4ELj32ELN6hipcub17WarpLoadAlgorithmE0EiEvPT3_S3_
	.p2align	8
	.type	_Z16warp_load_kernelILj256ELj4ELj32ELN6hipcub17WarpLoadAlgorithmE0EiEvPT3_S3_,@function
_Z16warp_load_kernelILj256ELj4ELj32ELN6hipcub17WarpLoadAlgorithmE0EiEvPT3_S3_: ; @_Z16warp_load_kernelILj256ELj4ELj32ELN6hipcub17WarpLoadAlgorithmE0EiEvPT3_S3_
; %bb.0:
	s_load_dwordx4 s[0:3], s[4:5], 0x0
	v_lshlrev_b32_e32 v1, 2, v0
	s_lshl_b32 s4, s6, 10
	v_mov_b32_e32 v6, 0
	v_mbcnt_lo_u32_b32 v3, -1, 0
	v_and_or_b32 v5, 0x380, v1, s4
	v_mov_b32_e32 v8, v6
	v_lshlrev_b32_e32 v3, 4, v3
	v_mov_b32_e32 v10, v6
	v_lshlrev_b64 v[1:2], 2, v[5:6]
	v_or_b32_e32 v5, s4, v0
	v_or_b32_e32 v7, 0x100, v5
	v_or_b32_e32 v9, 0x200, v5
	v_lshlrev_b64 v[11:12], 2, v[5:6]
	s_waitcnt lgkmcnt(0)
	v_add_co_u32 v1, vcc_lo, s0, v1
	v_add_co_ci_u32_e64 v2, null, s1, v2, vcc_lo
	v_or_b32_e32 v5, 0x300, v5
	v_add_co_u32 v1, vcc_lo, v1, v3
	v_add_co_ci_u32_e64 v2, null, 0, v2, vcc_lo
	v_lshlrev_b64 v[7:8], 2, v[7:8]
	v_lshlrev_b64 v[9:10], 2, v[9:10]
	;; [unrolled: 1-line block ×3, first 2 shown]
	global_load_dwordx4 v[1:4], v[1:2], off
	v_add_co_u32 v11, vcc_lo, s2, v11
	v_add_co_ci_u32_e64 v12, null, s3, v12, vcc_lo
	v_add_co_u32 v7, vcc_lo, s2, v7
	v_add_co_ci_u32_e64 v8, null, s3, v8, vcc_lo
	;; [unrolled: 2-line block ×4, first 2 shown]
	s_waitcnt vmcnt(0)
	global_store_dword v[11:12], v1, off
	global_store_dword v[7:8], v2, off
	;; [unrolled: 1-line block ×4, first 2 shown]
	s_endpgm
	.section	.rodata,"a",@progbits
	.p2align	6, 0x0
	.amdhsa_kernel _Z16warp_load_kernelILj256ELj4ELj32ELN6hipcub17WarpLoadAlgorithmE0EiEvPT3_S3_
		.amdhsa_group_segment_fixed_size 0
		.amdhsa_private_segment_fixed_size 0
		.amdhsa_kernarg_size 16
		.amdhsa_user_sgpr_count 6
		.amdhsa_user_sgpr_private_segment_buffer 1
		.amdhsa_user_sgpr_dispatch_ptr 0
		.amdhsa_user_sgpr_queue_ptr 0
		.amdhsa_user_sgpr_kernarg_segment_ptr 1
		.amdhsa_user_sgpr_dispatch_id 0
		.amdhsa_user_sgpr_flat_scratch_init 0
		.amdhsa_user_sgpr_private_segment_size 0
		.amdhsa_wavefront_size32 1
		.amdhsa_uses_dynamic_stack 0
		.amdhsa_system_sgpr_private_segment_wavefront_offset 0
		.amdhsa_system_sgpr_workgroup_id_x 1
		.amdhsa_system_sgpr_workgroup_id_y 0
		.amdhsa_system_sgpr_workgroup_id_z 0
		.amdhsa_system_sgpr_workgroup_info 0
		.amdhsa_system_vgpr_workitem_id 0
		.amdhsa_next_free_vgpr 13
		.amdhsa_next_free_sgpr 7
		.amdhsa_reserve_vcc 1
		.amdhsa_reserve_flat_scratch 0
		.amdhsa_float_round_mode_32 0
		.amdhsa_float_round_mode_16_64 0
		.amdhsa_float_denorm_mode_32 3
		.amdhsa_float_denorm_mode_16_64 3
		.amdhsa_dx10_clamp 1
		.amdhsa_ieee_mode 1
		.amdhsa_fp16_overflow 0
		.amdhsa_workgroup_processor_mode 1
		.amdhsa_memory_ordered 1
		.amdhsa_forward_progress 1
		.amdhsa_shared_vgpr_count 0
		.amdhsa_exception_fp_ieee_invalid_op 0
		.amdhsa_exception_fp_denorm_src 0
		.amdhsa_exception_fp_ieee_div_zero 0
		.amdhsa_exception_fp_ieee_overflow 0
		.amdhsa_exception_fp_ieee_underflow 0
		.amdhsa_exception_fp_ieee_inexact 0
		.amdhsa_exception_int_div_zero 0
	.end_amdhsa_kernel
	.section	.text._Z16warp_load_kernelILj256ELj4ELj32ELN6hipcub17WarpLoadAlgorithmE0EiEvPT3_S3_,"axG",@progbits,_Z16warp_load_kernelILj256ELj4ELj32ELN6hipcub17WarpLoadAlgorithmE0EiEvPT3_S3_,comdat
.Lfunc_end0:
	.size	_Z16warp_load_kernelILj256ELj4ELj32ELN6hipcub17WarpLoadAlgorithmE0EiEvPT3_S3_, .Lfunc_end0-_Z16warp_load_kernelILj256ELj4ELj32ELN6hipcub17WarpLoadAlgorithmE0EiEvPT3_S3_
                                        ; -- End function
	.set _Z16warp_load_kernelILj256ELj4ELj32ELN6hipcub17WarpLoadAlgorithmE0EiEvPT3_S3_.num_vgpr, 13
	.set _Z16warp_load_kernelILj256ELj4ELj32ELN6hipcub17WarpLoadAlgorithmE0EiEvPT3_S3_.num_agpr, 0
	.set _Z16warp_load_kernelILj256ELj4ELj32ELN6hipcub17WarpLoadAlgorithmE0EiEvPT3_S3_.numbered_sgpr, 7
	.set _Z16warp_load_kernelILj256ELj4ELj32ELN6hipcub17WarpLoadAlgorithmE0EiEvPT3_S3_.num_named_barrier, 0
	.set _Z16warp_load_kernelILj256ELj4ELj32ELN6hipcub17WarpLoadAlgorithmE0EiEvPT3_S3_.private_seg_size, 0
	.set _Z16warp_load_kernelILj256ELj4ELj32ELN6hipcub17WarpLoadAlgorithmE0EiEvPT3_S3_.uses_vcc, 1
	.set _Z16warp_load_kernelILj256ELj4ELj32ELN6hipcub17WarpLoadAlgorithmE0EiEvPT3_S3_.uses_flat_scratch, 0
	.set _Z16warp_load_kernelILj256ELj4ELj32ELN6hipcub17WarpLoadAlgorithmE0EiEvPT3_S3_.has_dyn_sized_stack, 0
	.set _Z16warp_load_kernelILj256ELj4ELj32ELN6hipcub17WarpLoadAlgorithmE0EiEvPT3_S3_.has_recursion, 0
	.set _Z16warp_load_kernelILj256ELj4ELj32ELN6hipcub17WarpLoadAlgorithmE0EiEvPT3_S3_.has_indirect_call, 0
	.section	.AMDGPU.csdata,"",@progbits
; Kernel info:
; codeLenInByte = 268
; TotalNumSgprs: 9
; NumVgprs: 13
; ScratchSize: 0
; MemoryBound: 0
; FloatMode: 240
; IeeeMode: 1
; LDSByteSize: 0 bytes/workgroup (compile time only)
; SGPRBlocks: 0
; VGPRBlocks: 1
; NumSGPRsForWavesPerEU: 9
; NumVGPRsForWavesPerEU: 13
; Occupancy: 16
; WaveLimiterHint : 0
; COMPUTE_PGM_RSRC2:SCRATCH_EN: 0
; COMPUTE_PGM_RSRC2:USER_SGPR: 6
; COMPUTE_PGM_RSRC2:TRAP_HANDLER: 0
; COMPUTE_PGM_RSRC2:TGID_X_EN: 1
; COMPUTE_PGM_RSRC2:TGID_Y_EN: 0
; COMPUTE_PGM_RSRC2:TGID_Z_EN: 0
; COMPUTE_PGM_RSRC2:TIDIG_COMP_CNT: 0
	.section	.text._Z16warp_load_kernelILj256ELj4ELj32ELN6hipcub17WarpLoadAlgorithmE1EiEvPT3_S3_,"axG",@progbits,_Z16warp_load_kernelILj256ELj4ELj32ELN6hipcub17WarpLoadAlgorithmE1EiEvPT3_S3_,comdat
	.protected	_Z16warp_load_kernelILj256ELj4ELj32ELN6hipcub17WarpLoadAlgorithmE1EiEvPT3_S3_ ; -- Begin function _Z16warp_load_kernelILj256ELj4ELj32ELN6hipcub17WarpLoadAlgorithmE1EiEvPT3_S3_
	.globl	_Z16warp_load_kernelILj256ELj4ELj32ELN6hipcub17WarpLoadAlgorithmE1EiEvPT3_S3_
	.p2align	8
	.type	_Z16warp_load_kernelILj256ELj4ELj32ELN6hipcub17WarpLoadAlgorithmE1EiEvPT3_S3_,@function
_Z16warp_load_kernelILj256ELj4ELj32ELN6hipcub17WarpLoadAlgorithmE1EiEvPT3_S3_: ; @_Z16warp_load_kernelILj256ELj4ELj32ELN6hipcub17WarpLoadAlgorithmE1EiEvPT3_S3_
; %bb.0:
	s_load_dwordx4 s[0:3], s[4:5], 0x0
	v_lshlrev_b32_e32 v1, 2, v0
	s_lshl_b32 s4, s6, 10
	v_mov_b32_e32 v2, 0
	v_mbcnt_lo_u32_b32 v5, -1, 0
	v_and_or_b32 v1, 0x380, v1, s4
	v_mov_b32_e32 v6, v2
	v_lshlrev_b64 v[3:4], 2, v[1:2]
	v_lshlrev_b32_e32 v1, 2, v5
	s_waitcnt lgkmcnt(0)
	v_add_co_u32 v3, vcc_lo, s0, v3
	v_add_co_ci_u32_e64 v4, null, s1, v4, vcc_lo
	v_add_co_u32 v3, vcc_lo, v3, v1
	v_add_co_ci_u32_e64 v4, null, 0, v4, vcc_lo
	v_or_b32_e32 v1, s4, v0
	s_clause 0x3
	global_load_dword v9, v[3:4], off
	global_load_dword v10, v[3:4], off offset:128
	global_load_dword v11, v[3:4], off offset:256
	;; [unrolled: 1-line block ×3, first 2 shown]
	v_mov_b32_e32 v4, v2
	v_or_b32_e32 v3, 0x100, v1
	v_or_b32_e32 v5, 0x200, v1
	v_lshlrev_b64 v[7:8], 2, v[1:2]
	v_or_b32_e32 v1, 0x300, v1
	v_lshlrev_b64 v[3:4], 2, v[3:4]
	v_lshlrev_b64 v[5:6], 2, v[5:6]
	;; [unrolled: 1-line block ×3, first 2 shown]
	v_add_co_u32 v7, vcc_lo, s2, v7
	v_add_co_ci_u32_e64 v8, null, s3, v8, vcc_lo
	v_add_co_u32 v2, vcc_lo, s2, v3
	v_add_co_ci_u32_e64 v3, null, s3, v4, vcc_lo
	;; [unrolled: 2-line block ×4, first 2 shown]
	s_waitcnt vmcnt(3)
	global_store_dword v[7:8], v9, off
	s_waitcnt vmcnt(2)
	global_store_dword v[2:3], v10, off
	;; [unrolled: 2-line block ×4, first 2 shown]
	s_endpgm
	.section	.rodata,"a",@progbits
	.p2align	6, 0x0
	.amdhsa_kernel _Z16warp_load_kernelILj256ELj4ELj32ELN6hipcub17WarpLoadAlgorithmE1EiEvPT3_S3_
		.amdhsa_group_segment_fixed_size 0
		.amdhsa_private_segment_fixed_size 0
		.amdhsa_kernarg_size 16
		.amdhsa_user_sgpr_count 6
		.amdhsa_user_sgpr_private_segment_buffer 1
		.amdhsa_user_sgpr_dispatch_ptr 0
		.amdhsa_user_sgpr_queue_ptr 0
		.amdhsa_user_sgpr_kernarg_segment_ptr 1
		.amdhsa_user_sgpr_dispatch_id 0
		.amdhsa_user_sgpr_flat_scratch_init 0
		.amdhsa_user_sgpr_private_segment_size 0
		.amdhsa_wavefront_size32 1
		.amdhsa_uses_dynamic_stack 0
		.amdhsa_system_sgpr_private_segment_wavefront_offset 0
		.amdhsa_system_sgpr_workgroup_id_x 1
		.amdhsa_system_sgpr_workgroup_id_y 0
		.amdhsa_system_sgpr_workgroup_id_z 0
		.amdhsa_system_sgpr_workgroup_info 0
		.amdhsa_system_vgpr_workitem_id 0
		.amdhsa_next_free_vgpr 13
		.amdhsa_next_free_sgpr 7
		.amdhsa_reserve_vcc 1
		.amdhsa_reserve_flat_scratch 0
		.amdhsa_float_round_mode_32 0
		.amdhsa_float_round_mode_16_64 0
		.amdhsa_float_denorm_mode_32 3
		.amdhsa_float_denorm_mode_16_64 3
		.amdhsa_dx10_clamp 1
		.amdhsa_ieee_mode 1
		.amdhsa_fp16_overflow 0
		.amdhsa_workgroup_processor_mode 1
		.amdhsa_memory_ordered 1
		.amdhsa_forward_progress 1
		.amdhsa_shared_vgpr_count 0
		.amdhsa_exception_fp_ieee_invalid_op 0
		.amdhsa_exception_fp_denorm_src 0
		.amdhsa_exception_fp_ieee_div_zero 0
		.amdhsa_exception_fp_ieee_overflow 0
		.amdhsa_exception_fp_ieee_underflow 0
		.amdhsa_exception_fp_ieee_inexact 0
		.amdhsa_exception_int_div_zero 0
	.end_amdhsa_kernel
	.section	.text._Z16warp_load_kernelILj256ELj4ELj32ELN6hipcub17WarpLoadAlgorithmE1EiEvPT3_S3_,"axG",@progbits,_Z16warp_load_kernelILj256ELj4ELj32ELN6hipcub17WarpLoadAlgorithmE1EiEvPT3_S3_,comdat
.Lfunc_end1:
	.size	_Z16warp_load_kernelILj256ELj4ELj32ELN6hipcub17WarpLoadAlgorithmE1EiEvPT3_S3_, .Lfunc_end1-_Z16warp_load_kernelILj256ELj4ELj32ELN6hipcub17WarpLoadAlgorithmE1EiEvPT3_S3_
                                        ; -- End function
	.set _Z16warp_load_kernelILj256ELj4ELj32ELN6hipcub17WarpLoadAlgorithmE1EiEvPT3_S3_.num_vgpr, 13
	.set _Z16warp_load_kernelILj256ELj4ELj32ELN6hipcub17WarpLoadAlgorithmE1EiEvPT3_S3_.num_agpr, 0
	.set _Z16warp_load_kernelILj256ELj4ELj32ELN6hipcub17WarpLoadAlgorithmE1EiEvPT3_S3_.numbered_sgpr, 7
	.set _Z16warp_load_kernelILj256ELj4ELj32ELN6hipcub17WarpLoadAlgorithmE1EiEvPT3_S3_.num_named_barrier, 0
	.set _Z16warp_load_kernelILj256ELj4ELj32ELN6hipcub17WarpLoadAlgorithmE1EiEvPT3_S3_.private_seg_size, 0
	.set _Z16warp_load_kernelILj256ELj4ELj32ELN6hipcub17WarpLoadAlgorithmE1EiEvPT3_S3_.uses_vcc, 1
	.set _Z16warp_load_kernelILj256ELj4ELj32ELN6hipcub17WarpLoadAlgorithmE1EiEvPT3_S3_.uses_flat_scratch, 0
	.set _Z16warp_load_kernelILj256ELj4ELj32ELN6hipcub17WarpLoadAlgorithmE1EiEvPT3_S3_.has_dyn_sized_stack, 0
	.set _Z16warp_load_kernelILj256ELj4ELj32ELN6hipcub17WarpLoadAlgorithmE1EiEvPT3_S3_.has_recursion, 0
	.set _Z16warp_load_kernelILj256ELj4ELj32ELN6hipcub17WarpLoadAlgorithmE1EiEvPT3_S3_.has_indirect_call, 0
	.section	.AMDGPU.csdata,"",@progbits
; Kernel info:
; codeLenInByte = 308
; TotalNumSgprs: 9
; NumVgprs: 13
; ScratchSize: 0
; MemoryBound: 0
; FloatMode: 240
; IeeeMode: 1
; LDSByteSize: 0 bytes/workgroup (compile time only)
; SGPRBlocks: 0
; VGPRBlocks: 1
; NumSGPRsForWavesPerEU: 9
; NumVGPRsForWavesPerEU: 13
; Occupancy: 16
; WaveLimiterHint : 1
; COMPUTE_PGM_RSRC2:SCRATCH_EN: 0
; COMPUTE_PGM_RSRC2:USER_SGPR: 6
; COMPUTE_PGM_RSRC2:TRAP_HANDLER: 0
; COMPUTE_PGM_RSRC2:TGID_X_EN: 1
; COMPUTE_PGM_RSRC2:TGID_Y_EN: 0
; COMPUTE_PGM_RSRC2:TGID_Z_EN: 0
; COMPUTE_PGM_RSRC2:TIDIG_COMP_CNT: 0
	.section	.text._Z16warp_load_kernelILj256ELj4ELj32ELN6hipcub17WarpLoadAlgorithmE2EiEvPT3_S3_,"axG",@progbits,_Z16warp_load_kernelILj256ELj4ELj32ELN6hipcub17WarpLoadAlgorithmE2EiEvPT3_S3_,comdat
	.protected	_Z16warp_load_kernelILj256ELj4ELj32ELN6hipcub17WarpLoadAlgorithmE2EiEvPT3_S3_ ; -- Begin function _Z16warp_load_kernelILj256ELj4ELj32ELN6hipcub17WarpLoadAlgorithmE2EiEvPT3_S3_
	.globl	_Z16warp_load_kernelILj256ELj4ELj32ELN6hipcub17WarpLoadAlgorithmE2EiEvPT3_S3_
	.p2align	8
	.type	_Z16warp_load_kernelILj256ELj4ELj32ELN6hipcub17WarpLoadAlgorithmE2EiEvPT3_S3_,@function
_Z16warp_load_kernelILj256ELj4ELj32ELN6hipcub17WarpLoadAlgorithmE2EiEvPT3_S3_: ; @_Z16warp_load_kernelILj256ELj4ELj32ELN6hipcub17WarpLoadAlgorithmE2EiEvPT3_S3_
; %bb.0:
	s_load_dwordx4 s[0:3], s[4:5], 0x0
	v_lshlrev_b32_e32 v1, 2, v0
	s_lshl_b32 s4, s6, 10
	v_mov_b32_e32 v6, 0
	v_mbcnt_lo_u32_b32 v3, -1, 0
	v_and_or_b32 v5, 0x380, v1, s4
	v_mov_b32_e32 v8, v6
	v_lshlrev_b32_e32 v3, 4, v3
	v_mov_b32_e32 v10, v6
	v_lshlrev_b64 v[1:2], 2, v[5:6]
	v_or_b32_e32 v5, s4, v0
	v_or_b32_e32 v7, 0x100, v5
	;; [unrolled: 1-line block ×3, first 2 shown]
	v_lshlrev_b64 v[11:12], 2, v[5:6]
	s_waitcnt lgkmcnt(0)
	v_add_co_u32 v1, vcc_lo, s0, v1
	v_add_co_ci_u32_e64 v2, null, s1, v2, vcc_lo
	v_or_b32_e32 v5, 0x300, v5
	v_add_co_u32 v1, vcc_lo, v1, v3
	v_add_co_ci_u32_e64 v2, null, 0, v2, vcc_lo
	v_lshlrev_b64 v[7:8], 2, v[7:8]
	v_lshlrev_b64 v[9:10], 2, v[9:10]
	;; [unrolled: 1-line block ×3, first 2 shown]
	global_load_dwordx4 v[1:4], v[1:2], off
	v_add_co_u32 v11, vcc_lo, s2, v11
	v_add_co_ci_u32_e64 v12, null, s3, v12, vcc_lo
	v_add_co_u32 v7, vcc_lo, s2, v7
	v_add_co_ci_u32_e64 v8, null, s3, v8, vcc_lo
	v_add_co_u32 v9, vcc_lo, s2, v9
	v_add_co_ci_u32_e64 v10, null, s3, v10, vcc_lo
	v_add_co_u32 v5, vcc_lo, s2, v5
	v_add_co_ci_u32_e64 v6, null, s3, v6, vcc_lo
	s_waitcnt vmcnt(0)
	global_store_dword v[11:12], v1, off
	global_store_dword v[7:8], v2, off
	;; [unrolled: 1-line block ×4, first 2 shown]
	s_endpgm
	.section	.rodata,"a",@progbits
	.p2align	6, 0x0
	.amdhsa_kernel _Z16warp_load_kernelILj256ELj4ELj32ELN6hipcub17WarpLoadAlgorithmE2EiEvPT3_S3_
		.amdhsa_group_segment_fixed_size 0
		.amdhsa_private_segment_fixed_size 0
		.amdhsa_kernarg_size 16
		.amdhsa_user_sgpr_count 6
		.amdhsa_user_sgpr_private_segment_buffer 1
		.amdhsa_user_sgpr_dispatch_ptr 0
		.amdhsa_user_sgpr_queue_ptr 0
		.amdhsa_user_sgpr_kernarg_segment_ptr 1
		.amdhsa_user_sgpr_dispatch_id 0
		.amdhsa_user_sgpr_flat_scratch_init 0
		.amdhsa_user_sgpr_private_segment_size 0
		.amdhsa_wavefront_size32 1
		.amdhsa_uses_dynamic_stack 0
		.amdhsa_system_sgpr_private_segment_wavefront_offset 0
		.amdhsa_system_sgpr_workgroup_id_x 1
		.amdhsa_system_sgpr_workgroup_id_y 0
		.amdhsa_system_sgpr_workgroup_id_z 0
		.amdhsa_system_sgpr_workgroup_info 0
		.amdhsa_system_vgpr_workitem_id 0
		.amdhsa_next_free_vgpr 13
		.amdhsa_next_free_sgpr 7
		.amdhsa_reserve_vcc 1
		.amdhsa_reserve_flat_scratch 0
		.amdhsa_float_round_mode_32 0
		.amdhsa_float_round_mode_16_64 0
		.amdhsa_float_denorm_mode_32 3
		.amdhsa_float_denorm_mode_16_64 3
		.amdhsa_dx10_clamp 1
		.amdhsa_ieee_mode 1
		.amdhsa_fp16_overflow 0
		.amdhsa_workgroup_processor_mode 1
		.amdhsa_memory_ordered 1
		.amdhsa_forward_progress 1
		.amdhsa_shared_vgpr_count 0
		.amdhsa_exception_fp_ieee_invalid_op 0
		.amdhsa_exception_fp_denorm_src 0
		.amdhsa_exception_fp_ieee_div_zero 0
		.amdhsa_exception_fp_ieee_overflow 0
		.amdhsa_exception_fp_ieee_underflow 0
		.amdhsa_exception_fp_ieee_inexact 0
		.amdhsa_exception_int_div_zero 0
	.end_amdhsa_kernel
	.section	.text._Z16warp_load_kernelILj256ELj4ELj32ELN6hipcub17WarpLoadAlgorithmE2EiEvPT3_S3_,"axG",@progbits,_Z16warp_load_kernelILj256ELj4ELj32ELN6hipcub17WarpLoadAlgorithmE2EiEvPT3_S3_,comdat
.Lfunc_end2:
	.size	_Z16warp_load_kernelILj256ELj4ELj32ELN6hipcub17WarpLoadAlgorithmE2EiEvPT3_S3_, .Lfunc_end2-_Z16warp_load_kernelILj256ELj4ELj32ELN6hipcub17WarpLoadAlgorithmE2EiEvPT3_S3_
                                        ; -- End function
	.set _Z16warp_load_kernelILj256ELj4ELj32ELN6hipcub17WarpLoadAlgorithmE2EiEvPT3_S3_.num_vgpr, 13
	.set _Z16warp_load_kernelILj256ELj4ELj32ELN6hipcub17WarpLoadAlgorithmE2EiEvPT3_S3_.num_agpr, 0
	.set _Z16warp_load_kernelILj256ELj4ELj32ELN6hipcub17WarpLoadAlgorithmE2EiEvPT3_S3_.numbered_sgpr, 7
	.set _Z16warp_load_kernelILj256ELj4ELj32ELN6hipcub17WarpLoadAlgorithmE2EiEvPT3_S3_.num_named_barrier, 0
	.set _Z16warp_load_kernelILj256ELj4ELj32ELN6hipcub17WarpLoadAlgorithmE2EiEvPT3_S3_.private_seg_size, 0
	.set _Z16warp_load_kernelILj256ELj4ELj32ELN6hipcub17WarpLoadAlgorithmE2EiEvPT3_S3_.uses_vcc, 1
	.set _Z16warp_load_kernelILj256ELj4ELj32ELN6hipcub17WarpLoadAlgorithmE2EiEvPT3_S3_.uses_flat_scratch, 0
	.set _Z16warp_load_kernelILj256ELj4ELj32ELN6hipcub17WarpLoadAlgorithmE2EiEvPT3_S3_.has_dyn_sized_stack, 0
	.set _Z16warp_load_kernelILj256ELj4ELj32ELN6hipcub17WarpLoadAlgorithmE2EiEvPT3_S3_.has_recursion, 0
	.set _Z16warp_load_kernelILj256ELj4ELj32ELN6hipcub17WarpLoadAlgorithmE2EiEvPT3_S3_.has_indirect_call, 0
	.section	.AMDGPU.csdata,"",@progbits
; Kernel info:
; codeLenInByte = 268
; TotalNumSgprs: 9
; NumVgprs: 13
; ScratchSize: 0
; MemoryBound: 0
; FloatMode: 240
; IeeeMode: 1
; LDSByteSize: 0 bytes/workgroup (compile time only)
; SGPRBlocks: 0
; VGPRBlocks: 1
; NumSGPRsForWavesPerEU: 9
; NumVGPRsForWavesPerEU: 13
; Occupancy: 16
; WaveLimiterHint : 0
; COMPUTE_PGM_RSRC2:SCRATCH_EN: 0
; COMPUTE_PGM_RSRC2:USER_SGPR: 6
; COMPUTE_PGM_RSRC2:TRAP_HANDLER: 0
; COMPUTE_PGM_RSRC2:TGID_X_EN: 1
; COMPUTE_PGM_RSRC2:TGID_Y_EN: 0
; COMPUTE_PGM_RSRC2:TGID_Z_EN: 0
; COMPUTE_PGM_RSRC2:TIDIG_COMP_CNT: 0
	.section	.text._Z16warp_load_kernelILj256ELj4ELj32ELN6hipcub17WarpLoadAlgorithmE3EiEvPT3_S3_,"axG",@progbits,_Z16warp_load_kernelILj256ELj4ELj32ELN6hipcub17WarpLoadAlgorithmE3EiEvPT3_S3_,comdat
	.protected	_Z16warp_load_kernelILj256ELj4ELj32ELN6hipcub17WarpLoadAlgorithmE3EiEvPT3_S3_ ; -- Begin function _Z16warp_load_kernelILj256ELj4ELj32ELN6hipcub17WarpLoadAlgorithmE3EiEvPT3_S3_
	.globl	_Z16warp_load_kernelILj256ELj4ELj32ELN6hipcub17WarpLoadAlgorithmE3EiEvPT3_S3_
	.p2align	8
	.type	_Z16warp_load_kernelILj256ELj4ELj32ELN6hipcub17WarpLoadAlgorithmE3EiEvPT3_S3_,@function
_Z16warp_load_kernelILj256ELj4ELj32ELN6hipcub17WarpLoadAlgorithmE3EiEvPT3_S3_: ; @_Z16warp_load_kernelILj256ELj4ELj32ELN6hipcub17WarpLoadAlgorithmE3EiEvPT3_S3_
; %bb.0:
	s_load_dwordx4 s[0:3], s[4:5], 0x0
	v_lshrrev_b32_e32 v3, 5, v0
	s_lshl_b32 s4, s6, 10
	v_mov_b32_e32 v5, 0
	v_mbcnt_lo_u32_b32 v6, -1, 0
	v_lshl_or_b32 v4, v3, 7, s4
	v_lshlrev_b32_e32 v3, 9, v3
	v_mov_b32_e32 v7, v5
	v_lshlrev_b32_e32 v8, 2, v6
	v_lshlrev_b64 v[1:2], 2, v[4:5]
	v_or_b32_e32 v4, s4, v0
	v_or_b32_e32 v15, v3, v8
	v_lshl_or_b32 v3, v6, 4, v3
	v_or_b32_e32 v0, 0x100, v4
	v_or_b32_e32 v6, 0x200, v4
	s_waitcnt lgkmcnt(0)
	v_add_co_u32 v1, vcc_lo, s0, v1
	v_add_co_ci_u32_e64 v2, null, s1, v2, vcc_lo
	v_lshlrev_b64 v[6:7], 2, v[6:7]
	v_add_co_u32 v1, vcc_lo, v1, v8
	v_add_co_ci_u32_e64 v2, null, 0, v2, vcc_lo
	v_lshlrev_b64 v[8:9], 2, v[4:5]
	v_or_b32_e32 v4, 0x300, v4
	s_clause 0x3
	global_load_dword v12, v[1:2], off
	global_load_dword v13, v[1:2], off offset:128
	global_load_dword v14, v[1:2], off offset:256
	;; [unrolled: 1-line block ×3, first 2 shown]
	v_mov_b32_e32 v1, v5
	s_waitcnt vmcnt(2)
	ds_write2_b32 v15, v12, v13 offset1:32
	s_waitcnt vmcnt(0)
	ds_write2_b32 v15, v14, v2 offset0:64 offset1:96
	v_lshlrev_b64 v[10:11], 2, v[0:1]
	; wave barrier
	ds_read_b128 v[0:3], v3
	v_lshlrev_b64 v[4:5], 2, v[4:5]
	v_add_co_u32 v8, vcc_lo, s2, v8
	v_add_co_ci_u32_e64 v9, null, s3, v9, vcc_lo
	v_add_co_u32 v10, vcc_lo, s2, v10
	v_add_co_ci_u32_e64 v11, null, s3, v11, vcc_lo
	v_add_co_u32 v6, vcc_lo, s2, v6
	v_add_co_ci_u32_e64 v7, null, s3, v7, vcc_lo
	v_add_co_u32 v4, vcc_lo, s2, v4
	v_add_co_ci_u32_e64 v5, null, s3, v5, vcc_lo
	s_waitcnt lgkmcnt(0)
	global_store_dword v[8:9], v0, off
	global_store_dword v[10:11], v1, off
	;; [unrolled: 1-line block ×4, first 2 shown]
	s_endpgm
	.section	.rodata,"a",@progbits
	.p2align	6, 0x0
	.amdhsa_kernel _Z16warp_load_kernelILj256ELj4ELj32ELN6hipcub17WarpLoadAlgorithmE3EiEvPT3_S3_
		.amdhsa_group_segment_fixed_size 4096
		.amdhsa_private_segment_fixed_size 0
		.amdhsa_kernarg_size 16
		.amdhsa_user_sgpr_count 6
		.amdhsa_user_sgpr_private_segment_buffer 1
		.amdhsa_user_sgpr_dispatch_ptr 0
		.amdhsa_user_sgpr_queue_ptr 0
		.amdhsa_user_sgpr_kernarg_segment_ptr 1
		.amdhsa_user_sgpr_dispatch_id 0
		.amdhsa_user_sgpr_flat_scratch_init 0
		.amdhsa_user_sgpr_private_segment_size 0
		.amdhsa_wavefront_size32 1
		.amdhsa_uses_dynamic_stack 0
		.amdhsa_system_sgpr_private_segment_wavefront_offset 0
		.amdhsa_system_sgpr_workgroup_id_x 1
		.amdhsa_system_sgpr_workgroup_id_y 0
		.amdhsa_system_sgpr_workgroup_id_z 0
		.amdhsa_system_sgpr_workgroup_info 0
		.amdhsa_system_vgpr_workitem_id 0
		.amdhsa_next_free_vgpr 16
		.amdhsa_next_free_sgpr 7
		.amdhsa_reserve_vcc 1
		.amdhsa_reserve_flat_scratch 0
		.amdhsa_float_round_mode_32 0
		.amdhsa_float_round_mode_16_64 0
		.amdhsa_float_denorm_mode_32 3
		.amdhsa_float_denorm_mode_16_64 3
		.amdhsa_dx10_clamp 1
		.amdhsa_ieee_mode 1
		.amdhsa_fp16_overflow 0
		.amdhsa_workgroup_processor_mode 1
		.amdhsa_memory_ordered 1
		.amdhsa_forward_progress 1
		.amdhsa_shared_vgpr_count 0
		.amdhsa_exception_fp_ieee_invalid_op 0
		.amdhsa_exception_fp_denorm_src 0
		.amdhsa_exception_fp_ieee_div_zero 0
		.amdhsa_exception_fp_ieee_overflow 0
		.amdhsa_exception_fp_ieee_underflow 0
		.amdhsa_exception_fp_ieee_inexact 0
		.amdhsa_exception_int_div_zero 0
	.end_amdhsa_kernel
	.section	.text._Z16warp_load_kernelILj256ELj4ELj32ELN6hipcub17WarpLoadAlgorithmE3EiEvPT3_S3_,"axG",@progbits,_Z16warp_load_kernelILj256ELj4ELj32ELN6hipcub17WarpLoadAlgorithmE3EiEvPT3_S3_,comdat
.Lfunc_end3:
	.size	_Z16warp_load_kernelILj256ELj4ELj32ELN6hipcub17WarpLoadAlgorithmE3EiEvPT3_S3_, .Lfunc_end3-_Z16warp_load_kernelILj256ELj4ELj32ELN6hipcub17WarpLoadAlgorithmE3EiEvPT3_S3_
                                        ; -- End function
	.set _Z16warp_load_kernelILj256ELj4ELj32ELN6hipcub17WarpLoadAlgorithmE3EiEvPT3_S3_.num_vgpr, 16
	.set _Z16warp_load_kernelILj256ELj4ELj32ELN6hipcub17WarpLoadAlgorithmE3EiEvPT3_S3_.num_agpr, 0
	.set _Z16warp_load_kernelILj256ELj4ELj32ELN6hipcub17WarpLoadAlgorithmE3EiEvPT3_S3_.numbered_sgpr, 7
	.set _Z16warp_load_kernelILj256ELj4ELj32ELN6hipcub17WarpLoadAlgorithmE3EiEvPT3_S3_.num_named_barrier, 0
	.set _Z16warp_load_kernelILj256ELj4ELj32ELN6hipcub17WarpLoadAlgorithmE3EiEvPT3_S3_.private_seg_size, 0
	.set _Z16warp_load_kernelILj256ELj4ELj32ELN6hipcub17WarpLoadAlgorithmE3EiEvPT3_S3_.uses_vcc, 1
	.set _Z16warp_load_kernelILj256ELj4ELj32ELN6hipcub17WarpLoadAlgorithmE3EiEvPT3_S3_.uses_flat_scratch, 0
	.set _Z16warp_load_kernelILj256ELj4ELj32ELN6hipcub17WarpLoadAlgorithmE3EiEvPT3_S3_.has_dyn_sized_stack, 0
	.set _Z16warp_load_kernelILj256ELj4ELj32ELN6hipcub17WarpLoadAlgorithmE3EiEvPT3_S3_.has_recursion, 0
	.set _Z16warp_load_kernelILj256ELj4ELj32ELN6hipcub17WarpLoadAlgorithmE3EiEvPT3_S3_.has_indirect_call, 0
	.section	.AMDGPU.csdata,"",@progbits
; Kernel info:
; codeLenInByte = 340
; TotalNumSgprs: 9
; NumVgprs: 16
; ScratchSize: 0
; MemoryBound: 0
; FloatMode: 240
; IeeeMode: 1
; LDSByteSize: 4096 bytes/workgroup (compile time only)
; SGPRBlocks: 0
; VGPRBlocks: 1
; NumSGPRsForWavesPerEU: 9
; NumVGPRsForWavesPerEU: 16
; Occupancy: 16
; WaveLimiterHint : 1
; COMPUTE_PGM_RSRC2:SCRATCH_EN: 0
; COMPUTE_PGM_RSRC2:USER_SGPR: 6
; COMPUTE_PGM_RSRC2:TRAP_HANDLER: 0
; COMPUTE_PGM_RSRC2:TGID_X_EN: 1
; COMPUTE_PGM_RSRC2:TGID_Y_EN: 0
; COMPUTE_PGM_RSRC2:TGID_Z_EN: 0
; COMPUTE_PGM_RSRC2:TIDIG_COMP_CNT: 0
	.section	.text._Z16warp_load_kernelILj256ELj8ELj32ELN6hipcub17WarpLoadAlgorithmE0EiEvPT3_S3_,"axG",@progbits,_Z16warp_load_kernelILj256ELj8ELj32ELN6hipcub17WarpLoadAlgorithmE0EiEvPT3_S3_,comdat
	.protected	_Z16warp_load_kernelILj256ELj8ELj32ELN6hipcub17WarpLoadAlgorithmE0EiEvPT3_S3_ ; -- Begin function _Z16warp_load_kernelILj256ELj8ELj32ELN6hipcub17WarpLoadAlgorithmE0EiEvPT3_S3_
	.globl	_Z16warp_load_kernelILj256ELj8ELj32ELN6hipcub17WarpLoadAlgorithmE0EiEvPT3_S3_
	.p2align	8
	.type	_Z16warp_load_kernelILj256ELj8ELj32ELN6hipcub17WarpLoadAlgorithmE0EiEvPT3_S3_,@function
_Z16warp_load_kernelILj256ELj8ELj32ELN6hipcub17WarpLoadAlgorithmE0EiEvPT3_S3_: ; @_Z16warp_load_kernelILj256ELj8ELj32ELN6hipcub17WarpLoadAlgorithmE0EiEvPT3_S3_
; %bb.0:
	s_load_dwordx4 s[0:3], s[4:5], 0x0
	v_lshlrev_b32_e32 v1, 3, v0
	s_lshl_b32 s4, s6, 11
	v_mov_b32_e32 v10, 0
	v_mbcnt_lo_u32_b32 v3, -1, 0
	v_and_or_b32 v9, 0x700, v1, s4
	v_mov_b32_e32 v12, v10
	v_lshlrev_b32_e32 v3, 5, v3
	v_mov_b32_e32 v14, v10
	v_lshlrev_b64 v[1:2], 2, v[9:10]
	v_or_b32_e32 v9, s4, v0
	v_mov_b32_e32 v16, v10
	v_mov_b32_e32 v18, v10
	;; [unrolled: 1-line block ×3, first 2 shown]
	v_or_b32_e32 v11, 0x200, v9
	v_or_b32_e32 v13, 0x300, v9
	v_lshlrev_b64 v[21:22], 2, v[9:10]
	s_waitcnt lgkmcnt(0)
	v_add_co_u32 v1, vcc_lo, s0, v1
	v_add_co_ci_u32_e64 v2, null, s1, v2, vcc_lo
	v_or_b32_e32 v15, 0x400, v9
	v_add_co_u32 v5, vcc_lo, v1, v3
	v_add_co_ci_u32_e64 v6, null, 0, v2, vcc_lo
	v_lshlrev_b64 v[11:12], 2, v[11:12]
	v_or_b32_e32 v17, 0x500, v9
	v_lshlrev_b64 v[13:14], 2, v[13:14]
	s_clause 0x1
	global_load_dwordx4 v[1:4], v[5:6], off
	global_load_dwordx4 v[5:8], v[5:6], off offset:16
	v_or_b32_e32 v19, 0x600, v9
	v_lshlrev_b64 v[15:16], 2, v[15:16]
	v_add_co_u32 v21, vcc_lo, s2, v21
	v_or_b32_e32 v9, 0x700, v9
	v_lshlrev_b64 v[17:18], 2, v[17:18]
	v_add_co_ci_u32_e64 v22, null, s3, v22, vcc_lo
	v_add_co_u32 v11, vcc_lo, s2, v11
	v_lshlrev_b64 v[19:20], 2, v[19:20]
	v_add_co_ci_u32_e64 v12, null, s3, v12, vcc_lo
	v_add_co_u32 v13, vcc_lo, s2, v13
	;; [unrolled: 3-line block ×3, first 2 shown]
	v_add_co_ci_u32_e64 v16, null, s3, v16, vcc_lo
	v_add_co_u32 v17, vcc_lo, s2, v17
	v_add_co_ci_u32_e64 v18, null, s3, v18, vcc_lo
	v_add_co_u32 v19, vcc_lo, s2, v19
	;; [unrolled: 2-line block ×3, first 2 shown]
	v_add_co_ci_u32_e64 v10, null, s3, v10, vcc_lo
	s_waitcnt vmcnt(1)
	global_store_dword v[21:22], v1, off
	global_store_dword v[21:22], v2, off offset:1024
	global_store_dword v[11:12], v3, off
	global_store_dword v[13:14], v4, off
	s_waitcnt vmcnt(0)
	global_store_dword v[15:16], v5, off
	global_store_dword v[17:18], v6, off
	;; [unrolled: 1-line block ×4, first 2 shown]
	s_endpgm
	.section	.rodata,"a",@progbits
	.p2align	6, 0x0
	.amdhsa_kernel _Z16warp_load_kernelILj256ELj8ELj32ELN6hipcub17WarpLoadAlgorithmE0EiEvPT3_S3_
		.amdhsa_group_segment_fixed_size 0
		.amdhsa_private_segment_fixed_size 0
		.amdhsa_kernarg_size 16
		.amdhsa_user_sgpr_count 6
		.amdhsa_user_sgpr_private_segment_buffer 1
		.amdhsa_user_sgpr_dispatch_ptr 0
		.amdhsa_user_sgpr_queue_ptr 0
		.amdhsa_user_sgpr_kernarg_segment_ptr 1
		.amdhsa_user_sgpr_dispatch_id 0
		.amdhsa_user_sgpr_flat_scratch_init 0
		.amdhsa_user_sgpr_private_segment_size 0
		.amdhsa_wavefront_size32 1
		.amdhsa_uses_dynamic_stack 0
		.amdhsa_system_sgpr_private_segment_wavefront_offset 0
		.amdhsa_system_sgpr_workgroup_id_x 1
		.amdhsa_system_sgpr_workgroup_id_y 0
		.amdhsa_system_sgpr_workgroup_id_z 0
		.amdhsa_system_sgpr_workgroup_info 0
		.amdhsa_system_vgpr_workitem_id 0
		.amdhsa_next_free_vgpr 23
		.amdhsa_next_free_sgpr 7
		.amdhsa_reserve_vcc 1
		.amdhsa_reserve_flat_scratch 0
		.amdhsa_float_round_mode_32 0
		.amdhsa_float_round_mode_16_64 0
		.amdhsa_float_denorm_mode_32 3
		.amdhsa_float_denorm_mode_16_64 3
		.amdhsa_dx10_clamp 1
		.amdhsa_ieee_mode 1
		.amdhsa_fp16_overflow 0
		.amdhsa_workgroup_processor_mode 1
		.amdhsa_memory_ordered 1
		.amdhsa_forward_progress 1
		.amdhsa_shared_vgpr_count 0
		.amdhsa_exception_fp_ieee_invalid_op 0
		.amdhsa_exception_fp_denorm_src 0
		.amdhsa_exception_fp_ieee_div_zero 0
		.amdhsa_exception_fp_ieee_overflow 0
		.amdhsa_exception_fp_ieee_underflow 0
		.amdhsa_exception_fp_ieee_inexact 0
		.amdhsa_exception_int_div_zero 0
	.end_amdhsa_kernel
	.section	.text._Z16warp_load_kernelILj256ELj8ELj32ELN6hipcub17WarpLoadAlgorithmE0EiEvPT3_S3_,"axG",@progbits,_Z16warp_load_kernelILj256ELj8ELj32ELN6hipcub17WarpLoadAlgorithmE0EiEvPT3_S3_,comdat
.Lfunc_end4:
	.size	_Z16warp_load_kernelILj256ELj8ELj32ELN6hipcub17WarpLoadAlgorithmE0EiEvPT3_S3_, .Lfunc_end4-_Z16warp_load_kernelILj256ELj8ELj32ELN6hipcub17WarpLoadAlgorithmE0EiEvPT3_S3_
                                        ; -- End function
	.set _Z16warp_load_kernelILj256ELj8ELj32ELN6hipcub17WarpLoadAlgorithmE0EiEvPT3_S3_.num_vgpr, 23
	.set _Z16warp_load_kernelILj256ELj8ELj32ELN6hipcub17WarpLoadAlgorithmE0EiEvPT3_S3_.num_agpr, 0
	.set _Z16warp_load_kernelILj256ELj8ELj32ELN6hipcub17WarpLoadAlgorithmE0EiEvPT3_S3_.numbered_sgpr, 7
	.set _Z16warp_load_kernelILj256ELj8ELj32ELN6hipcub17WarpLoadAlgorithmE0EiEvPT3_S3_.num_named_barrier, 0
	.set _Z16warp_load_kernelILj256ELj8ELj32ELN6hipcub17WarpLoadAlgorithmE0EiEvPT3_S3_.private_seg_size, 0
	.set _Z16warp_load_kernelILj256ELj8ELj32ELN6hipcub17WarpLoadAlgorithmE0EiEvPT3_S3_.uses_vcc, 1
	.set _Z16warp_load_kernelILj256ELj8ELj32ELN6hipcub17WarpLoadAlgorithmE0EiEvPT3_S3_.uses_flat_scratch, 0
	.set _Z16warp_load_kernelILj256ELj8ELj32ELN6hipcub17WarpLoadAlgorithmE0EiEvPT3_S3_.has_dyn_sized_stack, 0
	.set _Z16warp_load_kernelILj256ELj8ELj32ELN6hipcub17WarpLoadAlgorithmE0EiEvPT3_S3_.has_recursion, 0
	.set _Z16warp_load_kernelILj256ELj8ELj32ELN6hipcub17WarpLoadAlgorithmE0EiEvPT3_S3_.has_indirect_call, 0
	.section	.AMDGPU.csdata,"",@progbits
; Kernel info:
; codeLenInByte = 424
; TotalNumSgprs: 9
; NumVgprs: 23
; ScratchSize: 0
; MemoryBound: 0
; FloatMode: 240
; IeeeMode: 1
; LDSByteSize: 0 bytes/workgroup (compile time only)
; SGPRBlocks: 0
; VGPRBlocks: 2
; NumSGPRsForWavesPerEU: 9
; NumVGPRsForWavesPerEU: 23
; Occupancy: 16
; WaveLimiterHint : 1
; COMPUTE_PGM_RSRC2:SCRATCH_EN: 0
; COMPUTE_PGM_RSRC2:USER_SGPR: 6
; COMPUTE_PGM_RSRC2:TRAP_HANDLER: 0
; COMPUTE_PGM_RSRC2:TGID_X_EN: 1
; COMPUTE_PGM_RSRC2:TGID_Y_EN: 0
; COMPUTE_PGM_RSRC2:TGID_Z_EN: 0
; COMPUTE_PGM_RSRC2:TIDIG_COMP_CNT: 0
	.section	.text._Z16warp_load_kernelILj256ELj8ELj32ELN6hipcub17WarpLoadAlgorithmE1EiEvPT3_S3_,"axG",@progbits,_Z16warp_load_kernelILj256ELj8ELj32ELN6hipcub17WarpLoadAlgorithmE1EiEvPT3_S3_,comdat
	.protected	_Z16warp_load_kernelILj256ELj8ELj32ELN6hipcub17WarpLoadAlgorithmE1EiEvPT3_S3_ ; -- Begin function _Z16warp_load_kernelILj256ELj8ELj32ELN6hipcub17WarpLoadAlgorithmE1EiEvPT3_S3_
	.globl	_Z16warp_load_kernelILj256ELj8ELj32ELN6hipcub17WarpLoadAlgorithmE1EiEvPT3_S3_
	.p2align	8
	.type	_Z16warp_load_kernelILj256ELj8ELj32ELN6hipcub17WarpLoadAlgorithmE1EiEvPT3_S3_,@function
_Z16warp_load_kernelILj256ELj8ELj32ELN6hipcub17WarpLoadAlgorithmE1EiEvPT3_S3_: ; @_Z16warp_load_kernelILj256ELj8ELj32ELN6hipcub17WarpLoadAlgorithmE1EiEvPT3_S3_
; %bb.0:
	s_load_dwordx4 s[0:3], s[4:5], 0x0
	v_lshlrev_b32_e32 v1, 3, v0
	s_lshl_b32 s4, s6, 11
	v_mov_b32_e32 v2, 0
	v_mbcnt_lo_u32_b32 v5, -1, 0
	v_and_or_b32 v1, 0x700, v1, s4
	v_mov_b32_e32 v6, v2
	v_mov_b32_e32 v8, v2
	;; [unrolled: 1-line block ×3, first 2 shown]
	v_lshlrev_b64 v[3:4], 2, v[1:2]
	v_lshlrev_b32_e32 v1, 2, v5
	v_mov_b32_e32 v12, v2
	s_waitcnt lgkmcnt(0)
	v_add_co_u32 v3, vcc_lo, s0, v3
	v_add_co_ci_u32_e64 v4, null, s1, v4, vcc_lo
	v_add_co_u32 v3, vcc_lo, v3, v1
	v_add_co_ci_u32_e64 v4, null, 0, v4, vcc_lo
	v_or_b32_e32 v1, s4, v0
	s_clause 0x7
	global_load_dword v15, v[3:4], off
	global_load_dword v16, v[3:4], off offset:128
	global_load_dword v17, v[3:4], off offset:256
	;; [unrolled: 1-line block ×7, first 2 shown]
	v_mov_b32_e32 v4, v2
	v_or_b32_e32 v3, 0x200, v1
	v_or_b32_e32 v5, 0x300, v1
	v_lshlrev_b64 v[13:14], 2, v[1:2]
	v_or_b32_e32 v7, 0x400, v1
	v_or_b32_e32 v9, 0x500, v1
	v_lshlrev_b64 v[3:4], 2, v[3:4]
	;; [unrolled: 3-line block ×3, first 2 shown]
	v_lshlrev_b64 v[7:8], 2, v[7:8]
	v_add_co_u32 v13, vcc_lo, s2, v13
	v_lshlrev_b64 v[9:10], 2, v[9:10]
	v_lshlrev_b64 v[0:1], 2, v[1:2]
	v_add_co_ci_u32_e64 v14, null, s3, v14, vcc_lo
	v_add_co_u32 v2, vcc_lo, s2, v3
	v_lshlrev_b64 v[11:12], 2, v[11:12]
	v_add_co_ci_u32_e64 v3, null, s3, v4, vcc_lo
	v_add_co_u32 v4, vcc_lo, s2, v5
	v_add_co_ci_u32_e64 v5, null, s3, v6, vcc_lo
	v_add_co_u32 v6, vcc_lo, s2, v7
	;; [unrolled: 2-line block ×5, first 2 shown]
	v_add_co_ci_u32_e64 v1, null, s3, v1, vcc_lo
	s_waitcnt vmcnt(7)
	global_store_dword v[13:14], v15, off
	s_waitcnt vmcnt(6)
	global_store_dword v[13:14], v16, off offset:1024
	s_waitcnt vmcnt(5)
	global_store_dword v[2:3], v17, off
	s_waitcnt vmcnt(4)
	global_store_dword v[4:5], v18, off
	;; [unrolled: 2-line block ×6, first 2 shown]
	s_endpgm
	.section	.rodata,"a",@progbits
	.p2align	6, 0x0
	.amdhsa_kernel _Z16warp_load_kernelILj256ELj8ELj32ELN6hipcub17WarpLoadAlgorithmE1EiEvPT3_S3_
		.amdhsa_group_segment_fixed_size 0
		.amdhsa_private_segment_fixed_size 0
		.amdhsa_kernarg_size 16
		.amdhsa_user_sgpr_count 6
		.amdhsa_user_sgpr_private_segment_buffer 1
		.amdhsa_user_sgpr_dispatch_ptr 0
		.amdhsa_user_sgpr_queue_ptr 0
		.amdhsa_user_sgpr_kernarg_segment_ptr 1
		.amdhsa_user_sgpr_dispatch_id 0
		.amdhsa_user_sgpr_flat_scratch_init 0
		.amdhsa_user_sgpr_private_segment_size 0
		.amdhsa_wavefront_size32 1
		.amdhsa_uses_dynamic_stack 0
		.amdhsa_system_sgpr_private_segment_wavefront_offset 0
		.amdhsa_system_sgpr_workgroup_id_x 1
		.amdhsa_system_sgpr_workgroup_id_y 0
		.amdhsa_system_sgpr_workgroup_id_z 0
		.amdhsa_system_sgpr_workgroup_info 0
		.amdhsa_system_vgpr_workitem_id 0
		.amdhsa_next_free_vgpr 23
		.amdhsa_next_free_sgpr 7
		.amdhsa_reserve_vcc 1
		.amdhsa_reserve_flat_scratch 0
		.amdhsa_float_round_mode_32 0
		.amdhsa_float_round_mode_16_64 0
		.amdhsa_float_denorm_mode_32 3
		.amdhsa_float_denorm_mode_16_64 3
		.amdhsa_dx10_clamp 1
		.amdhsa_ieee_mode 1
		.amdhsa_fp16_overflow 0
		.amdhsa_workgroup_processor_mode 1
		.amdhsa_memory_ordered 1
		.amdhsa_forward_progress 1
		.amdhsa_shared_vgpr_count 0
		.amdhsa_exception_fp_ieee_invalid_op 0
		.amdhsa_exception_fp_denorm_src 0
		.amdhsa_exception_fp_ieee_div_zero 0
		.amdhsa_exception_fp_ieee_overflow 0
		.amdhsa_exception_fp_ieee_underflow 0
		.amdhsa_exception_fp_ieee_inexact 0
		.amdhsa_exception_int_div_zero 0
	.end_amdhsa_kernel
	.section	.text._Z16warp_load_kernelILj256ELj8ELj32ELN6hipcub17WarpLoadAlgorithmE1EiEvPT3_S3_,"axG",@progbits,_Z16warp_load_kernelILj256ELj8ELj32ELN6hipcub17WarpLoadAlgorithmE1EiEvPT3_S3_,comdat
.Lfunc_end5:
	.size	_Z16warp_load_kernelILj256ELj8ELj32ELN6hipcub17WarpLoadAlgorithmE1EiEvPT3_S3_, .Lfunc_end5-_Z16warp_load_kernelILj256ELj8ELj32ELN6hipcub17WarpLoadAlgorithmE1EiEvPT3_S3_
                                        ; -- End function
	.set _Z16warp_load_kernelILj256ELj8ELj32ELN6hipcub17WarpLoadAlgorithmE1EiEvPT3_S3_.num_vgpr, 23
	.set _Z16warp_load_kernelILj256ELj8ELj32ELN6hipcub17WarpLoadAlgorithmE1EiEvPT3_S3_.num_agpr, 0
	.set _Z16warp_load_kernelILj256ELj8ELj32ELN6hipcub17WarpLoadAlgorithmE1EiEvPT3_S3_.numbered_sgpr, 7
	.set _Z16warp_load_kernelILj256ELj8ELj32ELN6hipcub17WarpLoadAlgorithmE1EiEvPT3_S3_.num_named_barrier, 0
	.set _Z16warp_load_kernelILj256ELj8ELj32ELN6hipcub17WarpLoadAlgorithmE1EiEvPT3_S3_.private_seg_size, 0
	.set _Z16warp_load_kernelILj256ELj8ELj32ELN6hipcub17WarpLoadAlgorithmE1EiEvPT3_S3_.uses_vcc, 1
	.set _Z16warp_load_kernelILj256ELj8ELj32ELN6hipcub17WarpLoadAlgorithmE1EiEvPT3_S3_.uses_flat_scratch, 0
	.set _Z16warp_load_kernelILj256ELj8ELj32ELN6hipcub17WarpLoadAlgorithmE1EiEvPT3_S3_.has_dyn_sized_stack, 0
	.set _Z16warp_load_kernelILj256ELj8ELj32ELN6hipcub17WarpLoadAlgorithmE1EiEvPT3_S3_.has_recursion, 0
	.set _Z16warp_load_kernelILj256ELj8ELj32ELN6hipcub17WarpLoadAlgorithmE1EiEvPT3_S3_.has_indirect_call, 0
	.section	.AMDGPU.csdata,"",@progbits
; Kernel info:
; codeLenInByte = 496
; TotalNumSgprs: 9
; NumVgprs: 23
; ScratchSize: 0
; MemoryBound: 0
; FloatMode: 240
; IeeeMode: 1
; LDSByteSize: 0 bytes/workgroup (compile time only)
; SGPRBlocks: 0
; VGPRBlocks: 2
; NumSGPRsForWavesPerEU: 9
; NumVGPRsForWavesPerEU: 23
; Occupancy: 16
; WaveLimiterHint : 1
; COMPUTE_PGM_RSRC2:SCRATCH_EN: 0
; COMPUTE_PGM_RSRC2:USER_SGPR: 6
; COMPUTE_PGM_RSRC2:TRAP_HANDLER: 0
; COMPUTE_PGM_RSRC2:TGID_X_EN: 1
; COMPUTE_PGM_RSRC2:TGID_Y_EN: 0
; COMPUTE_PGM_RSRC2:TGID_Z_EN: 0
; COMPUTE_PGM_RSRC2:TIDIG_COMP_CNT: 0
	.section	.text._Z16warp_load_kernelILj256ELj8ELj32ELN6hipcub17WarpLoadAlgorithmE2EiEvPT3_S3_,"axG",@progbits,_Z16warp_load_kernelILj256ELj8ELj32ELN6hipcub17WarpLoadAlgorithmE2EiEvPT3_S3_,comdat
	.protected	_Z16warp_load_kernelILj256ELj8ELj32ELN6hipcub17WarpLoadAlgorithmE2EiEvPT3_S3_ ; -- Begin function _Z16warp_load_kernelILj256ELj8ELj32ELN6hipcub17WarpLoadAlgorithmE2EiEvPT3_S3_
	.globl	_Z16warp_load_kernelILj256ELj8ELj32ELN6hipcub17WarpLoadAlgorithmE2EiEvPT3_S3_
	.p2align	8
	.type	_Z16warp_load_kernelILj256ELj8ELj32ELN6hipcub17WarpLoadAlgorithmE2EiEvPT3_S3_,@function
_Z16warp_load_kernelILj256ELj8ELj32ELN6hipcub17WarpLoadAlgorithmE2EiEvPT3_S3_: ; @_Z16warp_load_kernelILj256ELj8ELj32ELN6hipcub17WarpLoadAlgorithmE2EiEvPT3_S3_
; %bb.0:
	s_load_dwordx4 s[0:3], s[4:5], 0x0
	v_lshlrev_b32_e32 v1, 3, v0
	s_lshl_b32 s4, s6, 11
	v_mov_b32_e32 v10, 0
	v_mbcnt_lo_u32_b32 v3, -1, 0
	v_and_or_b32 v9, 0x700, v1, s4
	v_mov_b32_e32 v12, v10
	v_lshlrev_b32_e32 v3, 5, v3
	v_mov_b32_e32 v14, v10
	v_lshlrev_b64 v[1:2], 2, v[9:10]
	v_or_b32_e32 v9, s4, v0
	v_mov_b32_e32 v16, v10
	v_mov_b32_e32 v18, v10
	;; [unrolled: 1-line block ×3, first 2 shown]
	v_or_b32_e32 v11, 0x200, v9
	v_or_b32_e32 v13, 0x300, v9
	v_lshlrev_b64 v[21:22], 2, v[9:10]
	s_waitcnt lgkmcnt(0)
	v_add_co_u32 v1, vcc_lo, s0, v1
	v_add_co_ci_u32_e64 v2, null, s1, v2, vcc_lo
	v_or_b32_e32 v15, 0x400, v9
	v_add_co_u32 v5, vcc_lo, v1, v3
	v_add_co_ci_u32_e64 v6, null, 0, v2, vcc_lo
	v_lshlrev_b64 v[11:12], 2, v[11:12]
	v_or_b32_e32 v17, 0x500, v9
	v_lshlrev_b64 v[13:14], 2, v[13:14]
	s_clause 0x1
	global_load_dwordx4 v[1:4], v[5:6], off
	global_load_dwordx4 v[5:8], v[5:6], off offset:16
	v_or_b32_e32 v19, 0x600, v9
	v_lshlrev_b64 v[15:16], 2, v[15:16]
	v_add_co_u32 v21, vcc_lo, s2, v21
	v_or_b32_e32 v9, 0x700, v9
	v_lshlrev_b64 v[17:18], 2, v[17:18]
	v_add_co_ci_u32_e64 v22, null, s3, v22, vcc_lo
	v_add_co_u32 v11, vcc_lo, s2, v11
	v_lshlrev_b64 v[19:20], 2, v[19:20]
	v_add_co_ci_u32_e64 v12, null, s3, v12, vcc_lo
	v_add_co_u32 v13, vcc_lo, s2, v13
	;; [unrolled: 3-line block ×3, first 2 shown]
	v_add_co_ci_u32_e64 v16, null, s3, v16, vcc_lo
	v_add_co_u32 v17, vcc_lo, s2, v17
	v_add_co_ci_u32_e64 v18, null, s3, v18, vcc_lo
	v_add_co_u32 v19, vcc_lo, s2, v19
	;; [unrolled: 2-line block ×3, first 2 shown]
	v_add_co_ci_u32_e64 v10, null, s3, v10, vcc_lo
	s_waitcnt vmcnt(1)
	global_store_dword v[21:22], v1, off
	global_store_dword v[21:22], v2, off offset:1024
	global_store_dword v[11:12], v3, off
	global_store_dword v[13:14], v4, off
	s_waitcnt vmcnt(0)
	global_store_dword v[15:16], v5, off
	global_store_dword v[17:18], v6, off
	;; [unrolled: 1-line block ×4, first 2 shown]
	s_endpgm
	.section	.rodata,"a",@progbits
	.p2align	6, 0x0
	.amdhsa_kernel _Z16warp_load_kernelILj256ELj8ELj32ELN6hipcub17WarpLoadAlgorithmE2EiEvPT3_S3_
		.amdhsa_group_segment_fixed_size 0
		.amdhsa_private_segment_fixed_size 0
		.amdhsa_kernarg_size 16
		.amdhsa_user_sgpr_count 6
		.amdhsa_user_sgpr_private_segment_buffer 1
		.amdhsa_user_sgpr_dispatch_ptr 0
		.amdhsa_user_sgpr_queue_ptr 0
		.amdhsa_user_sgpr_kernarg_segment_ptr 1
		.amdhsa_user_sgpr_dispatch_id 0
		.amdhsa_user_sgpr_flat_scratch_init 0
		.amdhsa_user_sgpr_private_segment_size 0
		.amdhsa_wavefront_size32 1
		.amdhsa_uses_dynamic_stack 0
		.amdhsa_system_sgpr_private_segment_wavefront_offset 0
		.amdhsa_system_sgpr_workgroup_id_x 1
		.amdhsa_system_sgpr_workgroup_id_y 0
		.amdhsa_system_sgpr_workgroup_id_z 0
		.amdhsa_system_sgpr_workgroup_info 0
		.amdhsa_system_vgpr_workitem_id 0
		.amdhsa_next_free_vgpr 23
		.amdhsa_next_free_sgpr 7
		.amdhsa_reserve_vcc 1
		.amdhsa_reserve_flat_scratch 0
		.amdhsa_float_round_mode_32 0
		.amdhsa_float_round_mode_16_64 0
		.amdhsa_float_denorm_mode_32 3
		.amdhsa_float_denorm_mode_16_64 3
		.amdhsa_dx10_clamp 1
		.amdhsa_ieee_mode 1
		.amdhsa_fp16_overflow 0
		.amdhsa_workgroup_processor_mode 1
		.amdhsa_memory_ordered 1
		.amdhsa_forward_progress 1
		.amdhsa_shared_vgpr_count 0
		.amdhsa_exception_fp_ieee_invalid_op 0
		.amdhsa_exception_fp_denorm_src 0
		.amdhsa_exception_fp_ieee_div_zero 0
		.amdhsa_exception_fp_ieee_overflow 0
		.amdhsa_exception_fp_ieee_underflow 0
		.amdhsa_exception_fp_ieee_inexact 0
		.amdhsa_exception_int_div_zero 0
	.end_amdhsa_kernel
	.section	.text._Z16warp_load_kernelILj256ELj8ELj32ELN6hipcub17WarpLoadAlgorithmE2EiEvPT3_S3_,"axG",@progbits,_Z16warp_load_kernelILj256ELj8ELj32ELN6hipcub17WarpLoadAlgorithmE2EiEvPT3_S3_,comdat
.Lfunc_end6:
	.size	_Z16warp_load_kernelILj256ELj8ELj32ELN6hipcub17WarpLoadAlgorithmE2EiEvPT3_S3_, .Lfunc_end6-_Z16warp_load_kernelILj256ELj8ELj32ELN6hipcub17WarpLoadAlgorithmE2EiEvPT3_S3_
                                        ; -- End function
	.set _Z16warp_load_kernelILj256ELj8ELj32ELN6hipcub17WarpLoadAlgorithmE2EiEvPT3_S3_.num_vgpr, 23
	.set _Z16warp_load_kernelILj256ELj8ELj32ELN6hipcub17WarpLoadAlgorithmE2EiEvPT3_S3_.num_agpr, 0
	.set _Z16warp_load_kernelILj256ELj8ELj32ELN6hipcub17WarpLoadAlgorithmE2EiEvPT3_S3_.numbered_sgpr, 7
	.set _Z16warp_load_kernelILj256ELj8ELj32ELN6hipcub17WarpLoadAlgorithmE2EiEvPT3_S3_.num_named_barrier, 0
	.set _Z16warp_load_kernelILj256ELj8ELj32ELN6hipcub17WarpLoadAlgorithmE2EiEvPT3_S3_.private_seg_size, 0
	.set _Z16warp_load_kernelILj256ELj8ELj32ELN6hipcub17WarpLoadAlgorithmE2EiEvPT3_S3_.uses_vcc, 1
	.set _Z16warp_load_kernelILj256ELj8ELj32ELN6hipcub17WarpLoadAlgorithmE2EiEvPT3_S3_.uses_flat_scratch, 0
	.set _Z16warp_load_kernelILj256ELj8ELj32ELN6hipcub17WarpLoadAlgorithmE2EiEvPT3_S3_.has_dyn_sized_stack, 0
	.set _Z16warp_load_kernelILj256ELj8ELj32ELN6hipcub17WarpLoadAlgorithmE2EiEvPT3_S3_.has_recursion, 0
	.set _Z16warp_load_kernelILj256ELj8ELj32ELN6hipcub17WarpLoadAlgorithmE2EiEvPT3_S3_.has_indirect_call, 0
	.section	.AMDGPU.csdata,"",@progbits
; Kernel info:
; codeLenInByte = 424
; TotalNumSgprs: 9
; NumVgprs: 23
; ScratchSize: 0
; MemoryBound: 0
; FloatMode: 240
; IeeeMode: 1
; LDSByteSize: 0 bytes/workgroup (compile time only)
; SGPRBlocks: 0
; VGPRBlocks: 2
; NumSGPRsForWavesPerEU: 9
; NumVGPRsForWavesPerEU: 23
; Occupancy: 16
; WaveLimiterHint : 1
; COMPUTE_PGM_RSRC2:SCRATCH_EN: 0
; COMPUTE_PGM_RSRC2:USER_SGPR: 6
; COMPUTE_PGM_RSRC2:TRAP_HANDLER: 0
; COMPUTE_PGM_RSRC2:TGID_X_EN: 1
; COMPUTE_PGM_RSRC2:TGID_Y_EN: 0
; COMPUTE_PGM_RSRC2:TGID_Z_EN: 0
; COMPUTE_PGM_RSRC2:TIDIG_COMP_CNT: 0
	.section	.text._Z16warp_load_kernelILj256ELj8ELj32ELN6hipcub17WarpLoadAlgorithmE3EiEvPT3_S3_,"axG",@progbits,_Z16warp_load_kernelILj256ELj8ELj32ELN6hipcub17WarpLoadAlgorithmE3EiEvPT3_S3_,comdat
	.protected	_Z16warp_load_kernelILj256ELj8ELj32ELN6hipcub17WarpLoadAlgorithmE3EiEvPT3_S3_ ; -- Begin function _Z16warp_load_kernelILj256ELj8ELj32ELN6hipcub17WarpLoadAlgorithmE3EiEvPT3_S3_
	.globl	_Z16warp_load_kernelILj256ELj8ELj32ELN6hipcub17WarpLoadAlgorithmE3EiEvPT3_S3_
	.p2align	8
	.type	_Z16warp_load_kernelILj256ELj8ELj32ELN6hipcub17WarpLoadAlgorithmE3EiEvPT3_S3_,@function
_Z16warp_load_kernelILj256ELj8ELj32ELN6hipcub17WarpLoadAlgorithmE3EiEvPT3_S3_: ; @_Z16warp_load_kernelILj256ELj8ELj32ELN6hipcub17WarpLoadAlgorithmE3EiEvPT3_S3_
; %bb.0:
	s_load_dwordx4 s[0:3], s[4:5], 0x0
	v_lshrrev_b32_e32 v5, 5, v0
	s_lshl_b32 s4, s6, 11
	v_mov_b32_e32 v2, 0
	v_mbcnt_lo_u32_b32 v7, -1, 0
	v_lshl_or_b32 v1, v5, 8, s4
	v_mov_b32_e32 v6, v2
	v_lshlrev_b32_e32 v9, 2, v7
	v_mov_b32_e32 v8, v2
	v_lshlrev_b64 v[3:4], 2, v[1:2]
	v_mov_b32_e32 v10, v2
	v_mov_b32_e32 v12, v2
	s_waitcnt lgkmcnt(0)
	v_add_co_u32 v1, vcc_lo, s0, v3
	v_add_co_ci_u32_e64 v4, null, s1, v4, vcc_lo
	v_add_co_u32 v3, vcc_lo, v1, v9
	v_add_co_ci_u32_e64 v4, null, 0, v4, vcc_lo
	v_or_b32_e32 v1, s4, v0
	s_clause 0x7
	global_load_dword v21, v[3:4], off
	global_load_dword v22, v[3:4], off offset:128
	global_load_dword v23, v[3:4], off offset:256
	;; [unrolled: 1-line block ×7, first 2 shown]
	v_lshlrev_b32_e32 v3, 10, v5
	v_mov_b32_e32 v4, v2
	v_or_b32_e32 v5, 0x300, v1
	v_lshlrev_b64 v[13:14], 2, v[1:2]
	v_or_b32_e32 v11, 0x600, v1
	v_or_b32_e32 v0, v3, v9
	v_lshl_or_b32 v29, v7, 5, v3
	v_or_b32_e32 v3, 0x200, v1
	v_or_b32_e32 v7, 0x400, v1
	;; [unrolled: 1-line block ×4, first 2 shown]
	v_lshlrev_b64 v[5:6], 2, v[5:6]
	v_lshlrev_b64 v[3:4], 2, v[3:4]
	;; [unrolled: 1-line block ×5, first 2 shown]
	v_add_co_u32 v12, vcc_lo, s2, v13
	v_lshlrev_b64 v[17:18], 2, v[1:2]
	v_add_co_ci_u32_e64 v13, null, s3, v14, vcc_lo
	v_add_co_u32 v19, vcc_lo, s2, v3
	v_add_co_ci_u32_e64 v20, null, s3, v4, vcc_lo
	s_waitcnt vmcnt(6)
	ds_write2_b32 v0, v21, v22 offset1:32
	s_waitcnt vmcnt(4)
	ds_write2_b32 v0, v23, v24 offset0:64 offset1:96
	s_waitcnt vmcnt(2)
	ds_write2_b32 v0, v25, v26 offset0:128 offset1:160
	s_waitcnt vmcnt(0)
	ds_write2_b32 v0, v27, v28 offset0:192 offset1:224
	; wave barrier
	ds_read_b128 v[0:3], v29
	v_add_co_u32 v21, vcc_lo, s2, v5
	v_add_co_ci_u32_e64 v22, null, s3, v6, vcc_lo
	ds_read_b128 v[4:7], v29 offset:16
	v_add_co_u32 v14, vcc_lo, s2, v15
	v_add_co_ci_u32_e64 v15, null, s3, v16, vcc_lo
	v_add_co_u32 v8, vcc_lo, s2, v8
	v_add_co_ci_u32_e64 v9, null, s3, v9, vcc_lo
	;; [unrolled: 2-line block ×4, first 2 shown]
	s_waitcnt lgkmcnt(1)
	global_store_dword v[12:13], v0, off
	global_store_dword v[12:13], v1, off offset:1024
	global_store_dword v[19:20], v2, off
	global_store_dword v[21:22], v3, off
	s_waitcnt lgkmcnt(0)
	global_store_dword v[14:15], v4, off
	global_store_dword v[8:9], v5, off
	global_store_dword v[10:11], v6, off
	global_store_dword v[16:17], v7, off
	s_endpgm
	.section	.rodata,"a",@progbits
	.p2align	6, 0x0
	.amdhsa_kernel _Z16warp_load_kernelILj256ELj8ELj32ELN6hipcub17WarpLoadAlgorithmE3EiEvPT3_S3_
		.amdhsa_group_segment_fixed_size 8192
		.amdhsa_private_segment_fixed_size 0
		.amdhsa_kernarg_size 16
		.amdhsa_user_sgpr_count 6
		.amdhsa_user_sgpr_private_segment_buffer 1
		.amdhsa_user_sgpr_dispatch_ptr 0
		.amdhsa_user_sgpr_queue_ptr 0
		.amdhsa_user_sgpr_kernarg_segment_ptr 1
		.amdhsa_user_sgpr_dispatch_id 0
		.amdhsa_user_sgpr_flat_scratch_init 0
		.amdhsa_user_sgpr_private_segment_size 0
		.amdhsa_wavefront_size32 1
		.amdhsa_uses_dynamic_stack 0
		.amdhsa_system_sgpr_private_segment_wavefront_offset 0
		.amdhsa_system_sgpr_workgroup_id_x 1
		.amdhsa_system_sgpr_workgroup_id_y 0
		.amdhsa_system_sgpr_workgroup_id_z 0
		.amdhsa_system_sgpr_workgroup_info 0
		.amdhsa_system_vgpr_workitem_id 0
		.amdhsa_next_free_vgpr 30
		.amdhsa_next_free_sgpr 7
		.amdhsa_reserve_vcc 1
		.amdhsa_reserve_flat_scratch 0
		.amdhsa_float_round_mode_32 0
		.amdhsa_float_round_mode_16_64 0
		.amdhsa_float_denorm_mode_32 3
		.amdhsa_float_denorm_mode_16_64 3
		.amdhsa_dx10_clamp 1
		.amdhsa_ieee_mode 1
		.amdhsa_fp16_overflow 0
		.amdhsa_workgroup_processor_mode 1
		.amdhsa_memory_ordered 1
		.amdhsa_forward_progress 1
		.amdhsa_shared_vgpr_count 0
		.amdhsa_exception_fp_ieee_invalid_op 0
		.amdhsa_exception_fp_denorm_src 0
		.amdhsa_exception_fp_ieee_div_zero 0
		.amdhsa_exception_fp_ieee_overflow 0
		.amdhsa_exception_fp_ieee_underflow 0
		.amdhsa_exception_fp_ieee_inexact 0
		.amdhsa_exception_int_div_zero 0
	.end_amdhsa_kernel
	.section	.text._Z16warp_load_kernelILj256ELj8ELj32ELN6hipcub17WarpLoadAlgorithmE3EiEvPT3_S3_,"axG",@progbits,_Z16warp_load_kernelILj256ELj8ELj32ELN6hipcub17WarpLoadAlgorithmE3EiEvPT3_S3_,comdat
.Lfunc_end7:
	.size	_Z16warp_load_kernelILj256ELj8ELj32ELN6hipcub17WarpLoadAlgorithmE3EiEvPT3_S3_, .Lfunc_end7-_Z16warp_load_kernelILj256ELj8ELj32ELN6hipcub17WarpLoadAlgorithmE3EiEvPT3_S3_
                                        ; -- End function
	.set _Z16warp_load_kernelILj256ELj8ELj32ELN6hipcub17WarpLoadAlgorithmE3EiEvPT3_S3_.num_vgpr, 30
	.set _Z16warp_load_kernelILj256ELj8ELj32ELN6hipcub17WarpLoadAlgorithmE3EiEvPT3_S3_.num_agpr, 0
	.set _Z16warp_load_kernelILj256ELj8ELj32ELN6hipcub17WarpLoadAlgorithmE3EiEvPT3_S3_.numbered_sgpr, 7
	.set _Z16warp_load_kernelILj256ELj8ELj32ELN6hipcub17WarpLoadAlgorithmE3EiEvPT3_S3_.num_named_barrier, 0
	.set _Z16warp_load_kernelILj256ELj8ELj32ELN6hipcub17WarpLoadAlgorithmE3EiEvPT3_S3_.private_seg_size, 0
	.set _Z16warp_load_kernelILj256ELj8ELj32ELN6hipcub17WarpLoadAlgorithmE3EiEvPT3_S3_.uses_vcc, 1
	.set _Z16warp_load_kernelILj256ELj8ELj32ELN6hipcub17WarpLoadAlgorithmE3EiEvPT3_S3_.uses_flat_scratch, 0
	.set _Z16warp_load_kernelILj256ELj8ELj32ELN6hipcub17WarpLoadAlgorithmE3EiEvPT3_S3_.has_dyn_sized_stack, 0
	.set _Z16warp_load_kernelILj256ELj8ELj32ELN6hipcub17WarpLoadAlgorithmE3EiEvPT3_S3_.has_recursion, 0
	.set _Z16warp_load_kernelILj256ELj8ELj32ELN6hipcub17WarpLoadAlgorithmE3EiEvPT3_S3_.has_indirect_call, 0
	.section	.AMDGPU.csdata,"",@progbits
; Kernel info:
; codeLenInByte = 548
; TotalNumSgprs: 9
; NumVgprs: 30
; ScratchSize: 0
; MemoryBound: 0
; FloatMode: 240
; IeeeMode: 1
; LDSByteSize: 8192 bytes/workgroup (compile time only)
; SGPRBlocks: 0
; VGPRBlocks: 3
; NumSGPRsForWavesPerEU: 9
; NumVGPRsForWavesPerEU: 30
; Occupancy: 16
; WaveLimiterHint : 1
; COMPUTE_PGM_RSRC2:SCRATCH_EN: 0
; COMPUTE_PGM_RSRC2:USER_SGPR: 6
; COMPUTE_PGM_RSRC2:TRAP_HANDLER: 0
; COMPUTE_PGM_RSRC2:TGID_X_EN: 1
; COMPUTE_PGM_RSRC2:TGID_Y_EN: 0
; COMPUTE_PGM_RSRC2:TGID_Z_EN: 0
; COMPUTE_PGM_RSRC2:TIDIG_COMP_CNT: 0
	.section	.text._Z16warp_load_kernelILj256ELj16ELj32ELN6hipcub17WarpLoadAlgorithmE0EiEvPT3_S3_,"axG",@progbits,_Z16warp_load_kernelILj256ELj16ELj32ELN6hipcub17WarpLoadAlgorithmE0EiEvPT3_S3_,comdat
	.protected	_Z16warp_load_kernelILj256ELj16ELj32ELN6hipcub17WarpLoadAlgorithmE0EiEvPT3_S3_ ; -- Begin function _Z16warp_load_kernelILj256ELj16ELj32ELN6hipcub17WarpLoadAlgorithmE0EiEvPT3_S3_
	.globl	_Z16warp_load_kernelILj256ELj16ELj32ELN6hipcub17WarpLoadAlgorithmE0EiEvPT3_S3_
	.p2align	8
	.type	_Z16warp_load_kernelILj256ELj16ELj32ELN6hipcub17WarpLoadAlgorithmE0EiEvPT3_S3_,@function
_Z16warp_load_kernelILj256ELj16ELj32ELN6hipcub17WarpLoadAlgorithmE0EiEvPT3_S3_: ; @_Z16warp_load_kernelILj256ELj16ELj32ELN6hipcub17WarpLoadAlgorithmE0EiEvPT3_S3_
; %bb.0:
	s_load_dwordx4 s[0:3], s[4:5], 0x0
	v_lshlrev_b32_e32 v1, 4, v0
	s_lshl_b32 s4, s6, 12
	v_mov_b32_e32 v18, 0
	v_mbcnt_lo_u32_b32 v3, -1, 0
	v_and_or_b32 v17, 0xe00, v1, s4
	v_mov_b32_e32 v20, v18
	v_lshlrev_b32_e32 v3, 6, v3
	v_mov_b32_e32 v22, v18
	v_lshlrev_b64 v[1:2], 2, v[17:18]
	v_or_b32_e32 v17, s4, v0
	v_mov_b32_e32 v24, v18
	v_mov_b32_e32 v26, v18
	;; [unrolled: 1-line block ×4, first 2 shown]
	v_or_b32_e32 v19, 0x200, v17
	v_or_b32_e32 v21, 0x300, v17
	v_lshlrev_b64 v[45:46], 2, v[17:18]
	s_waitcnt lgkmcnt(0)
	v_add_co_u32 v1, vcc_lo, s0, v1
	v_add_co_ci_u32_e64 v2, null, s1, v2, vcc_lo
	v_or_b32_e32 v23, 0x400, v17
	v_add_co_u32 v13, vcc_lo, v1, v3
	v_add_co_ci_u32_e64 v14, null, 0, v2, vcc_lo
	v_lshlrev_b64 v[19:20], 2, v[19:20]
	v_or_b32_e32 v25, 0x500, v17
	v_lshlrev_b64 v[21:22], 2, v[21:22]
	s_clause 0x3
	global_load_dwordx4 v[1:4], v[13:14], off
	global_load_dwordx4 v[5:8], v[13:14], off offset:16
	global_load_dwordx4 v[9:12], v[13:14], off offset:32
	;; [unrolled: 1-line block ×3, first 2 shown]
	v_or_b32_e32 v27, 0x600, v17
	v_lshlrev_b64 v[23:24], 2, v[23:24]
	v_add_co_u32 v45, vcc_lo, s2, v45
	v_or_b32_e32 v29, 0x700, v17
	v_lshlrev_b64 v[25:26], 2, v[25:26]
	v_add_co_ci_u32_e64 v46, null, s3, v46, vcc_lo
	v_add_co_u32 v19, vcc_lo, s2, v19
	v_mov_b32_e32 v32, v18
	v_or_b32_e32 v31, 0x800, v17
	v_lshlrev_b64 v[27:28], 2, v[27:28]
	v_add_co_ci_u32_e64 v20, null, s3, v20, vcc_lo
	v_add_co_u32 v21, vcc_lo, s2, v21
	v_mov_b32_e32 v34, v18
	;; [unrolled: 5-line block ×7, first 2 shown]
	v_or_b32_e32 v43, 0xe00, v17
	v_lshlrev_b64 v[39:40], 2, v[39:40]
	v_add_co_ci_u32_e64 v32, null, s3, v32, vcc_lo
	v_add_co_u32 v33, vcc_lo, s2, v33
	v_or_b32_e32 v17, 0xf00, v17
	v_lshlrev_b64 v[41:42], 2, v[41:42]
	v_add_co_ci_u32_e64 v34, null, s3, v34, vcc_lo
	v_add_co_u32 v35, vcc_lo, s2, v35
	v_lshlrev_b64 v[43:44], 2, v[43:44]
	v_add_co_ci_u32_e64 v36, null, s3, v36, vcc_lo
	v_add_co_u32 v37, vcc_lo, s2, v37
	v_lshlrev_b64 v[17:18], 2, v[17:18]
	v_add_co_ci_u32_e64 v38, null, s3, v38, vcc_lo
	v_add_co_u32 v39, vcc_lo, s2, v39
	v_add_co_ci_u32_e64 v40, null, s3, v40, vcc_lo
	v_add_co_u32 v41, vcc_lo, s2, v41
	v_add_co_ci_u32_e64 v42, null, s3, v42, vcc_lo
	v_add_co_u32 v43, vcc_lo, s2, v43
	;; [unrolled: 2-line block ×3, first 2 shown]
	v_add_co_ci_u32_e64 v18, null, s3, v18, vcc_lo
	s_waitcnt vmcnt(3)
	global_store_dword v[45:46], v1, off
	global_store_dword v[45:46], v2, off offset:1024
	global_store_dword v[19:20], v3, off
	global_store_dword v[21:22], v4, off
	s_waitcnt vmcnt(2)
	global_store_dword v[23:24], v5, off
	global_store_dword v[25:26], v6, off
	global_store_dword v[27:28], v7, off
	global_store_dword v[29:30], v8, off
	s_waitcnt vmcnt(1)
	global_store_dword v[31:32], v9, off
	global_store_dword v[33:34], v10, off
	;; [unrolled: 5-line block ×3, first 2 shown]
	global_store_dword v[43:44], v15, off
	global_store_dword v[17:18], v16, off
	s_endpgm
	.section	.rodata,"a",@progbits
	.p2align	6, 0x0
	.amdhsa_kernel _Z16warp_load_kernelILj256ELj16ELj32ELN6hipcub17WarpLoadAlgorithmE0EiEvPT3_S3_
		.amdhsa_group_segment_fixed_size 0
		.amdhsa_private_segment_fixed_size 0
		.amdhsa_kernarg_size 16
		.amdhsa_user_sgpr_count 6
		.amdhsa_user_sgpr_private_segment_buffer 1
		.amdhsa_user_sgpr_dispatch_ptr 0
		.amdhsa_user_sgpr_queue_ptr 0
		.amdhsa_user_sgpr_kernarg_segment_ptr 1
		.amdhsa_user_sgpr_dispatch_id 0
		.amdhsa_user_sgpr_flat_scratch_init 0
		.amdhsa_user_sgpr_private_segment_size 0
		.amdhsa_wavefront_size32 1
		.amdhsa_uses_dynamic_stack 0
		.amdhsa_system_sgpr_private_segment_wavefront_offset 0
		.amdhsa_system_sgpr_workgroup_id_x 1
		.amdhsa_system_sgpr_workgroup_id_y 0
		.amdhsa_system_sgpr_workgroup_id_z 0
		.amdhsa_system_sgpr_workgroup_info 0
		.amdhsa_system_vgpr_workitem_id 0
		.amdhsa_next_free_vgpr 47
		.amdhsa_next_free_sgpr 7
		.amdhsa_reserve_vcc 1
		.amdhsa_reserve_flat_scratch 0
		.amdhsa_float_round_mode_32 0
		.amdhsa_float_round_mode_16_64 0
		.amdhsa_float_denorm_mode_32 3
		.amdhsa_float_denorm_mode_16_64 3
		.amdhsa_dx10_clamp 1
		.amdhsa_ieee_mode 1
		.amdhsa_fp16_overflow 0
		.amdhsa_workgroup_processor_mode 1
		.amdhsa_memory_ordered 1
		.amdhsa_forward_progress 1
		.amdhsa_shared_vgpr_count 0
		.amdhsa_exception_fp_ieee_invalid_op 0
		.amdhsa_exception_fp_denorm_src 0
		.amdhsa_exception_fp_ieee_div_zero 0
		.amdhsa_exception_fp_ieee_overflow 0
		.amdhsa_exception_fp_ieee_underflow 0
		.amdhsa_exception_fp_ieee_inexact 0
		.amdhsa_exception_int_div_zero 0
	.end_amdhsa_kernel
	.section	.text._Z16warp_load_kernelILj256ELj16ELj32ELN6hipcub17WarpLoadAlgorithmE0EiEvPT3_S3_,"axG",@progbits,_Z16warp_load_kernelILj256ELj16ELj32ELN6hipcub17WarpLoadAlgorithmE0EiEvPT3_S3_,comdat
.Lfunc_end8:
	.size	_Z16warp_load_kernelILj256ELj16ELj32ELN6hipcub17WarpLoadAlgorithmE0EiEvPT3_S3_, .Lfunc_end8-_Z16warp_load_kernelILj256ELj16ELj32ELN6hipcub17WarpLoadAlgorithmE0EiEvPT3_S3_
                                        ; -- End function
	.set _Z16warp_load_kernelILj256ELj16ELj32ELN6hipcub17WarpLoadAlgorithmE0EiEvPT3_S3_.num_vgpr, 47
	.set _Z16warp_load_kernelILj256ELj16ELj32ELN6hipcub17WarpLoadAlgorithmE0EiEvPT3_S3_.num_agpr, 0
	.set _Z16warp_load_kernelILj256ELj16ELj32ELN6hipcub17WarpLoadAlgorithmE0EiEvPT3_S3_.numbered_sgpr, 7
	.set _Z16warp_load_kernelILj256ELj16ELj32ELN6hipcub17WarpLoadAlgorithmE0EiEvPT3_S3_.num_named_barrier, 0
	.set _Z16warp_load_kernelILj256ELj16ELj32ELN6hipcub17WarpLoadAlgorithmE0EiEvPT3_S3_.private_seg_size, 0
	.set _Z16warp_load_kernelILj256ELj16ELj32ELN6hipcub17WarpLoadAlgorithmE0EiEvPT3_S3_.uses_vcc, 1
	.set _Z16warp_load_kernelILj256ELj16ELj32ELN6hipcub17WarpLoadAlgorithmE0EiEvPT3_S3_.uses_flat_scratch, 0
	.set _Z16warp_load_kernelILj256ELj16ELj32ELN6hipcub17WarpLoadAlgorithmE0EiEvPT3_S3_.has_dyn_sized_stack, 0
	.set _Z16warp_load_kernelILj256ELj16ELj32ELN6hipcub17WarpLoadAlgorithmE0EiEvPT3_S3_.has_recursion, 0
	.set _Z16warp_load_kernelILj256ELj16ELj32ELN6hipcub17WarpLoadAlgorithmE0EiEvPT3_S3_.has_indirect_call, 0
	.section	.AMDGPU.csdata,"",@progbits
; Kernel info:
; codeLenInByte = 800
; TotalNumSgprs: 9
; NumVgprs: 47
; ScratchSize: 0
; MemoryBound: 0
; FloatMode: 240
; IeeeMode: 1
; LDSByteSize: 0 bytes/workgroup (compile time only)
; SGPRBlocks: 0
; VGPRBlocks: 5
; NumSGPRsForWavesPerEU: 9
; NumVGPRsForWavesPerEU: 47
; Occupancy: 16
; WaveLimiterHint : 1
; COMPUTE_PGM_RSRC2:SCRATCH_EN: 0
; COMPUTE_PGM_RSRC2:USER_SGPR: 6
; COMPUTE_PGM_RSRC2:TRAP_HANDLER: 0
; COMPUTE_PGM_RSRC2:TGID_X_EN: 1
; COMPUTE_PGM_RSRC2:TGID_Y_EN: 0
; COMPUTE_PGM_RSRC2:TGID_Z_EN: 0
; COMPUTE_PGM_RSRC2:TIDIG_COMP_CNT: 0
	.section	.text._Z16warp_load_kernelILj256ELj16ELj32ELN6hipcub17WarpLoadAlgorithmE1EiEvPT3_S3_,"axG",@progbits,_Z16warp_load_kernelILj256ELj16ELj32ELN6hipcub17WarpLoadAlgorithmE1EiEvPT3_S3_,comdat
	.protected	_Z16warp_load_kernelILj256ELj16ELj32ELN6hipcub17WarpLoadAlgorithmE1EiEvPT3_S3_ ; -- Begin function _Z16warp_load_kernelILj256ELj16ELj32ELN6hipcub17WarpLoadAlgorithmE1EiEvPT3_S3_
	.globl	_Z16warp_load_kernelILj256ELj16ELj32ELN6hipcub17WarpLoadAlgorithmE1EiEvPT3_S3_
	.p2align	8
	.type	_Z16warp_load_kernelILj256ELj16ELj32ELN6hipcub17WarpLoadAlgorithmE1EiEvPT3_S3_,@function
_Z16warp_load_kernelILj256ELj16ELj32ELN6hipcub17WarpLoadAlgorithmE1EiEvPT3_S3_: ; @_Z16warp_load_kernelILj256ELj16ELj32ELN6hipcub17WarpLoadAlgorithmE1EiEvPT3_S3_
; %bb.0:
	s_load_dwordx4 s[0:3], s[4:5], 0x0
	v_lshlrev_b32_e32 v1, 4, v0
	s_lshl_b32 s4, s6, 12
	v_mov_b32_e32 v2, 0
	v_mbcnt_lo_u32_b32 v5, -1, 0
	v_and_or_b32 v1, 0xe00, v1, s4
	v_mov_b32_e32 v6, v2
	v_mov_b32_e32 v8, v2
	;; [unrolled: 1-line block ×3, first 2 shown]
	v_lshlrev_b64 v[3:4], 2, v[1:2]
	v_lshlrev_b32_e32 v1, 2, v5
	v_mov_b32_e32 v12, v2
	v_mov_b32_e32 v14, v2
	;; [unrolled: 1-line block ×7, first 2 shown]
	s_waitcnt lgkmcnt(0)
	v_add_co_u32 v3, vcc_lo, s0, v3
	v_add_co_ci_u32_e64 v4, null, s1, v4, vcc_lo
	v_mov_b32_e32 v26, v2
	v_add_co_u32 v3, vcc_lo, v3, v1
	v_add_co_ci_u32_e64 v4, null, 0, v4, vcc_lo
	v_or_b32_e32 v1, s4, v0
	v_mov_b32_e32 v28, v2
	s_clause 0xf
	global_load_dword v31, v[3:4], off
	global_load_dword v32, v[3:4], off offset:128
	global_load_dword v33, v[3:4], off offset:256
	;; [unrolled: 1-line block ×15, first 2 shown]
	v_mov_b32_e32 v4, v2
	v_or_b32_e32 v3, 0x200, v1
	v_or_b32_e32 v5, 0x300, v1
	v_lshlrev_b64 v[29:30], 2, v[1:2]
	v_or_b32_e32 v7, 0x400, v1
	v_or_b32_e32 v9, 0x500, v1
	v_lshlrev_b64 v[3:4], 2, v[3:4]
	v_or_b32_e32 v11, 0x600, v1
	v_or_b32_e32 v13, 0x700, v1
	;; [unrolled: 1-line block ×10, first 2 shown]
	v_lshlrev_b64 v[5:6], 2, v[5:6]
	v_lshlrev_b64 v[7:8], 2, v[7:8]
	v_add_co_u32 v29, vcc_lo, s2, v29
	v_lshlrev_b64 v[9:10], 2, v[9:10]
	v_lshlrev_b64 v[0:1], 2, v[1:2]
	v_add_co_ci_u32_e64 v30, null, s3, v30, vcc_lo
	v_add_co_u32 v2, vcc_lo, s2, v3
	v_lshlrev_b64 v[11:12], 2, v[11:12]
	v_add_co_ci_u32_e64 v3, null, s3, v4, vcc_lo
	v_add_co_u32 v4, vcc_lo, s2, v5
	;; [unrolled: 3-line block ×10, first 2 shown]
	v_add_co_ci_u32_e64 v21, null, s3, v22, vcc_lo
	v_add_co_u32 v22, vcc_lo, s2, v23
	v_add_co_ci_u32_e64 v23, null, s3, v24, vcc_lo
	v_add_co_u32 v24, vcc_lo, s2, v25
	;; [unrolled: 2-line block ×4, first 2 shown]
	v_add_co_ci_u32_e64 v1, null, s3, v1, vcc_lo
	s_waitcnt vmcnt(15)
	global_store_dword v[29:30], v31, off
	s_waitcnt vmcnt(14)
	global_store_dword v[29:30], v32, off offset:1024
	s_waitcnt vmcnt(13)
	global_store_dword v[2:3], v33, off
	s_waitcnt vmcnt(12)
	global_store_dword v[4:5], v34, off
	;; [unrolled: 2-line block ×14, first 2 shown]
	s_endpgm
	.section	.rodata,"a",@progbits
	.p2align	6, 0x0
	.amdhsa_kernel _Z16warp_load_kernelILj256ELj16ELj32ELN6hipcub17WarpLoadAlgorithmE1EiEvPT3_S3_
		.amdhsa_group_segment_fixed_size 0
		.amdhsa_private_segment_fixed_size 0
		.amdhsa_kernarg_size 16
		.amdhsa_user_sgpr_count 6
		.amdhsa_user_sgpr_private_segment_buffer 1
		.amdhsa_user_sgpr_dispatch_ptr 0
		.amdhsa_user_sgpr_queue_ptr 0
		.amdhsa_user_sgpr_kernarg_segment_ptr 1
		.amdhsa_user_sgpr_dispatch_id 0
		.amdhsa_user_sgpr_flat_scratch_init 0
		.amdhsa_user_sgpr_private_segment_size 0
		.amdhsa_wavefront_size32 1
		.amdhsa_uses_dynamic_stack 0
		.amdhsa_system_sgpr_private_segment_wavefront_offset 0
		.amdhsa_system_sgpr_workgroup_id_x 1
		.amdhsa_system_sgpr_workgroup_id_y 0
		.amdhsa_system_sgpr_workgroup_id_z 0
		.amdhsa_system_sgpr_workgroup_info 0
		.amdhsa_system_vgpr_workitem_id 0
		.amdhsa_next_free_vgpr 47
		.amdhsa_next_free_sgpr 7
		.amdhsa_reserve_vcc 1
		.amdhsa_reserve_flat_scratch 0
		.amdhsa_float_round_mode_32 0
		.amdhsa_float_round_mode_16_64 0
		.amdhsa_float_denorm_mode_32 3
		.amdhsa_float_denorm_mode_16_64 3
		.amdhsa_dx10_clamp 1
		.amdhsa_ieee_mode 1
		.amdhsa_fp16_overflow 0
		.amdhsa_workgroup_processor_mode 1
		.amdhsa_memory_ordered 1
		.amdhsa_forward_progress 1
		.amdhsa_shared_vgpr_count 0
		.amdhsa_exception_fp_ieee_invalid_op 0
		.amdhsa_exception_fp_denorm_src 0
		.amdhsa_exception_fp_ieee_div_zero 0
		.amdhsa_exception_fp_ieee_overflow 0
		.amdhsa_exception_fp_ieee_underflow 0
		.amdhsa_exception_fp_ieee_inexact 0
		.amdhsa_exception_int_div_zero 0
	.end_amdhsa_kernel
	.section	.text._Z16warp_load_kernelILj256ELj16ELj32ELN6hipcub17WarpLoadAlgorithmE1EiEvPT3_S3_,"axG",@progbits,_Z16warp_load_kernelILj256ELj16ELj32ELN6hipcub17WarpLoadAlgorithmE1EiEvPT3_S3_,comdat
.Lfunc_end9:
	.size	_Z16warp_load_kernelILj256ELj16ELj32ELN6hipcub17WarpLoadAlgorithmE1EiEvPT3_S3_, .Lfunc_end9-_Z16warp_load_kernelILj256ELj16ELj32ELN6hipcub17WarpLoadAlgorithmE1EiEvPT3_S3_
                                        ; -- End function
	.set _Z16warp_load_kernelILj256ELj16ELj32ELN6hipcub17WarpLoadAlgorithmE1EiEvPT3_S3_.num_vgpr, 47
	.set _Z16warp_load_kernelILj256ELj16ELj32ELN6hipcub17WarpLoadAlgorithmE1EiEvPT3_S3_.num_agpr, 0
	.set _Z16warp_load_kernelILj256ELj16ELj32ELN6hipcub17WarpLoadAlgorithmE1EiEvPT3_S3_.numbered_sgpr, 7
	.set _Z16warp_load_kernelILj256ELj16ELj32ELN6hipcub17WarpLoadAlgorithmE1EiEvPT3_S3_.num_named_barrier, 0
	.set _Z16warp_load_kernelILj256ELj16ELj32ELN6hipcub17WarpLoadAlgorithmE1EiEvPT3_S3_.private_seg_size, 0
	.set _Z16warp_load_kernelILj256ELj16ELj32ELN6hipcub17WarpLoadAlgorithmE1EiEvPT3_S3_.uses_vcc, 1
	.set _Z16warp_load_kernelILj256ELj16ELj32ELN6hipcub17WarpLoadAlgorithmE1EiEvPT3_S3_.uses_flat_scratch, 0
	.set _Z16warp_load_kernelILj256ELj16ELj32ELN6hipcub17WarpLoadAlgorithmE1EiEvPT3_S3_.has_dyn_sized_stack, 0
	.set _Z16warp_load_kernelILj256ELj16ELj32ELN6hipcub17WarpLoadAlgorithmE1EiEvPT3_S3_.has_recursion, 0
	.set _Z16warp_load_kernelILj256ELj16ELj32ELN6hipcub17WarpLoadAlgorithmE1EiEvPT3_S3_.has_indirect_call, 0
	.section	.AMDGPU.csdata,"",@progbits
; Kernel info:
; codeLenInByte = 944
; TotalNumSgprs: 9
; NumVgprs: 47
; ScratchSize: 0
; MemoryBound: 0
; FloatMode: 240
; IeeeMode: 1
; LDSByteSize: 0 bytes/workgroup (compile time only)
; SGPRBlocks: 0
; VGPRBlocks: 5
; NumSGPRsForWavesPerEU: 9
; NumVGPRsForWavesPerEU: 47
; Occupancy: 16
; WaveLimiterHint : 1
; COMPUTE_PGM_RSRC2:SCRATCH_EN: 0
; COMPUTE_PGM_RSRC2:USER_SGPR: 6
; COMPUTE_PGM_RSRC2:TRAP_HANDLER: 0
; COMPUTE_PGM_RSRC2:TGID_X_EN: 1
; COMPUTE_PGM_RSRC2:TGID_Y_EN: 0
; COMPUTE_PGM_RSRC2:TGID_Z_EN: 0
; COMPUTE_PGM_RSRC2:TIDIG_COMP_CNT: 0
	.section	.text._Z16warp_load_kernelILj256ELj16ELj32ELN6hipcub17WarpLoadAlgorithmE2EiEvPT3_S3_,"axG",@progbits,_Z16warp_load_kernelILj256ELj16ELj32ELN6hipcub17WarpLoadAlgorithmE2EiEvPT3_S3_,comdat
	.protected	_Z16warp_load_kernelILj256ELj16ELj32ELN6hipcub17WarpLoadAlgorithmE2EiEvPT3_S3_ ; -- Begin function _Z16warp_load_kernelILj256ELj16ELj32ELN6hipcub17WarpLoadAlgorithmE2EiEvPT3_S3_
	.globl	_Z16warp_load_kernelILj256ELj16ELj32ELN6hipcub17WarpLoadAlgorithmE2EiEvPT3_S3_
	.p2align	8
	.type	_Z16warp_load_kernelILj256ELj16ELj32ELN6hipcub17WarpLoadAlgorithmE2EiEvPT3_S3_,@function
_Z16warp_load_kernelILj256ELj16ELj32ELN6hipcub17WarpLoadAlgorithmE2EiEvPT3_S3_: ; @_Z16warp_load_kernelILj256ELj16ELj32ELN6hipcub17WarpLoadAlgorithmE2EiEvPT3_S3_
; %bb.0:
	s_load_dwordx4 s[0:3], s[4:5], 0x0
	v_lshlrev_b32_e32 v1, 4, v0
	s_lshl_b32 s4, s6, 12
	v_mov_b32_e32 v18, 0
	v_mbcnt_lo_u32_b32 v3, -1, 0
	v_and_or_b32 v17, 0xe00, v1, s4
	v_mov_b32_e32 v20, v18
	v_lshlrev_b32_e32 v3, 6, v3
	v_mov_b32_e32 v22, v18
	v_lshlrev_b64 v[1:2], 2, v[17:18]
	v_or_b32_e32 v17, s4, v0
	v_mov_b32_e32 v24, v18
	v_mov_b32_e32 v26, v18
	;; [unrolled: 1-line block ×4, first 2 shown]
	v_or_b32_e32 v19, 0x200, v17
	v_or_b32_e32 v21, 0x300, v17
	v_lshlrev_b64 v[45:46], 2, v[17:18]
	s_waitcnt lgkmcnt(0)
	v_add_co_u32 v1, vcc_lo, s0, v1
	v_add_co_ci_u32_e64 v2, null, s1, v2, vcc_lo
	v_or_b32_e32 v23, 0x400, v17
	v_add_co_u32 v13, vcc_lo, v1, v3
	v_add_co_ci_u32_e64 v14, null, 0, v2, vcc_lo
	v_lshlrev_b64 v[19:20], 2, v[19:20]
	v_or_b32_e32 v25, 0x500, v17
	v_lshlrev_b64 v[21:22], 2, v[21:22]
	s_clause 0x3
	global_load_dwordx4 v[1:4], v[13:14], off
	global_load_dwordx4 v[5:8], v[13:14], off offset:16
	global_load_dwordx4 v[9:12], v[13:14], off offset:32
	;; [unrolled: 1-line block ×3, first 2 shown]
	v_or_b32_e32 v27, 0x600, v17
	v_lshlrev_b64 v[23:24], 2, v[23:24]
	v_add_co_u32 v45, vcc_lo, s2, v45
	v_or_b32_e32 v29, 0x700, v17
	v_lshlrev_b64 v[25:26], 2, v[25:26]
	v_add_co_ci_u32_e64 v46, null, s3, v46, vcc_lo
	v_add_co_u32 v19, vcc_lo, s2, v19
	v_mov_b32_e32 v32, v18
	v_or_b32_e32 v31, 0x800, v17
	v_lshlrev_b64 v[27:28], 2, v[27:28]
	v_add_co_ci_u32_e64 v20, null, s3, v20, vcc_lo
	v_add_co_u32 v21, vcc_lo, s2, v21
	v_mov_b32_e32 v34, v18
	;; [unrolled: 5-line block ×7, first 2 shown]
	v_or_b32_e32 v43, 0xe00, v17
	v_lshlrev_b64 v[39:40], 2, v[39:40]
	v_add_co_ci_u32_e64 v32, null, s3, v32, vcc_lo
	v_add_co_u32 v33, vcc_lo, s2, v33
	v_or_b32_e32 v17, 0xf00, v17
	v_lshlrev_b64 v[41:42], 2, v[41:42]
	v_add_co_ci_u32_e64 v34, null, s3, v34, vcc_lo
	v_add_co_u32 v35, vcc_lo, s2, v35
	v_lshlrev_b64 v[43:44], 2, v[43:44]
	v_add_co_ci_u32_e64 v36, null, s3, v36, vcc_lo
	v_add_co_u32 v37, vcc_lo, s2, v37
	;; [unrolled: 3-line block ×3, first 2 shown]
	v_add_co_ci_u32_e64 v40, null, s3, v40, vcc_lo
	v_add_co_u32 v41, vcc_lo, s2, v41
	v_add_co_ci_u32_e64 v42, null, s3, v42, vcc_lo
	v_add_co_u32 v43, vcc_lo, s2, v43
	;; [unrolled: 2-line block ×3, first 2 shown]
	v_add_co_ci_u32_e64 v18, null, s3, v18, vcc_lo
	s_waitcnt vmcnt(3)
	global_store_dword v[45:46], v1, off
	global_store_dword v[45:46], v2, off offset:1024
	global_store_dword v[19:20], v3, off
	global_store_dword v[21:22], v4, off
	s_waitcnt vmcnt(2)
	global_store_dword v[23:24], v5, off
	global_store_dword v[25:26], v6, off
	global_store_dword v[27:28], v7, off
	global_store_dword v[29:30], v8, off
	s_waitcnt vmcnt(1)
	global_store_dword v[31:32], v9, off
	global_store_dword v[33:34], v10, off
	;; [unrolled: 5-line block ×3, first 2 shown]
	global_store_dword v[43:44], v15, off
	global_store_dword v[17:18], v16, off
	s_endpgm
	.section	.rodata,"a",@progbits
	.p2align	6, 0x0
	.amdhsa_kernel _Z16warp_load_kernelILj256ELj16ELj32ELN6hipcub17WarpLoadAlgorithmE2EiEvPT3_S3_
		.amdhsa_group_segment_fixed_size 0
		.amdhsa_private_segment_fixed_size 0
		.amdhsa_kernarg_size 16
		.amdhsa_user_sgpr_count 6
		.amdhsa_user_sgpr_private_segment_buffer 1
		.amdhsa_user_sgpr_dispatch_ptr 0
		.amdhsa_user_sgpr_queue_ptr 0
		.amdhsa_user_sgpr_kernarg_segment_ptr 1
		.amdhsa_user_sgpr_dispatch_id 0
		.amdhsa_user_sgpr_flat_scratch_init 0
		.amdhsa_user_sgpr_private_segment_size 0
		.amdhsa_wavefront_size32 1
		.amdhsa_uses_dynamic_stack 0
		.amdhsa_system_sgpr_private_segment_wavefront_offset 0
		.amdhsa_system_sgpr_workgroup_id_x 1
		.amdhsa_system_sgpr_workgroup_id_y 0
		.amdhsa_system_sgpr_workgroup_id_z 0
		.amdhsa_system_sgpr_workgroup_info 0
		.amdhsa_system_vgpr_workitem_id 0
		.amdhsa_next_free_vgpr 47
		.amdhsa_next_free_sgpr 7
		.amdhsa_reserve_vcc 1
		.amdhsa_reserve_flat_scratch 0
		.amdhsa_float_round_mode_32 0
		.amdhsa_float_round_mode_16_64 0
		.amdhsa_float_denorm_mode_32 3
		.amdhsa_float_denorm_mode_16_64 3
		.amdhsa_dx10_clamp 1
		.amdhsa_ieee_mode 1
		.amdhsa_fp16_overflow 0
		.amdhsa_workgroup_processor_mode 1
		.amdhsa_memory_ordered 1
		.amdhsa_forward_progress 1
		.amdhsa_shared_vgpr_count 0
		.amdhsa_exception_fp_ieee_invalid_op 0
		.amdhsa_exception_fp_denorm_src 0
		.amdhsa_exception_fp_ieee_div_zero 0
		.amdhsa_exception_fp_ieee_overflow 0
		.amdhsa_exception_fp_ieee_underflow 0
		.amdhsa_exception_fp_ieee_inexact 0
		.amdhsa_exception_int_div_zero 0
	.end_amdhsa_kernel
	.section	.text._Z16warp_load_kernelILj256ELj16ELj32ELN6hipcub17WarpLoadAlgorithmE2EiEvPT3_S3_,"axG",@progbits,_Z16warp_load_kernelILj256ELj16ELj32ELN6hipcub17WarpLoadAlgorithmE2EiEvPT3_S3_,comdat
.Lfunc_end10:
	.size	_Z16warp_load_kernelILj256ELj16ELj32ELN6hipcub17WarpLoadAlgorithmE2EiEvPT3_S3_, .Lfunc_end10-_Z16warp_load_kernelILj256ELj16ELj32ELN6hipcub17WarpLoadAlgorithmE2EiEvPT3_S3_
                                        ; -- End function
	.set _Z16warp_load_kernelILj256ELj16ELj32ELN6hipcub17WarpLoadAlgorithmE2EiEvPT3_S3_.num_vgpr, 47
	.set _Z16warp_load_kernelILj256ELj16ELj32ELN6hipcub17WarpLoadAlgorithmE2EiEvPT3_S3_.num_agpr, 0
	.set _Z16warp_load_kernelILj256ELj16ELj32ELN6hipcub17WarpLoadAlgorithmE2EiEvPT3_S3_.numbered_sgpr, 7
	.set _Z16warp_load_kernelILj256ELj16ELj32ELN6hipcub17WarpLoadAlgorithmE2EiEvPT3_S3_.num_named_barrier, 0
	.set _Z16warp_load_kernelILj256ELj16ELj32ELN6hipcub17WarpLoadAlgorithmE2EiEvPT3_S3_.private_seg_size, 0
	.set _Z16warp_load_kernelILj256ELj16ELj32ELN6hipcub17WarpLoadAlgorithmE2EiEvPT3_S3_.uses_vcc, 1
	.set _Z16warp_load_kernelILj256ELj16ELj32ELN6hipcub17WarpLoadAlgorithmE2EiEvPT3_S3_.uses_flat_scratch, 0
	.set _Z16warp_load_kernelILj256ELj16ELj32ELN6hipcub17WarpLoadAlgorithmE2EiEvPT3_S3_.has_dyn_sized_stack, 0
	.set _Z16warp_load_kernelILj256ELj16ELj32ELN6hipcub17WarpLoadAlgorithmE2EiEvPT3_S3_.has_recursion, 0
	.set _Z16warp_load_kernelILj256ELj16ELj32ELN6hipcub17WarpLoadAlgorithmE2EiEvPT3_S3_.has_indirect_call, 0
	.section	.AMDGPU.csdata,"",@progbits
; Kernel info:
; codeLenInByte = 800
; TotalNumSgprs: 9
; NumVgprs: 47
; ScratchSize: 0
; MemoryBound: 0
; FloatMode: 240
; IeeeMode: 1
; LDSByteSize: 0 bytes/workgroup (compile time only)
; SGPRBlocks: 0
; VGPRBlocks: 5
; NumSGPRsForWavesPerEU: 9
; NumVGPRsForWavesPerEU: 47
; Occupancy: 16
; WaveLimiterHint : 1
; COMPUTE_PGM_RSRC2:SCRATCH_EN: 0
; COMPUTE_PGM_RSRC2:USER_SGPR: 6
; COMPUTE_PGM_RSRC2:TRAP_HANDLER: 0
; COMPUTE_PGM_RSRC2:TGID_X_EN: 1
; COMPUTE_PGM_RSRC2:TGID_Y_EN: 0
; COMPUTE_PGM_RSRC2:TGID_Z_EN: 0
; COMPUTE_PGM_RSRC2:TIDIG_COMP_CNT: 0
	.section	.text._Z16warp_load_kernelILj256ELj16ELj32ELN6hipcub17WarpLoadAlgorithmE3EiEvPT3_S3_,"axG",@progbits,_Z16warp_load_kernelILj256ELj16ELj32ELN6hipcub17WarpLoadAlgorithmE3EiEvPT3_S3_,comdat
	.protected	_Z16warp_load_kernelILj256ELj16ELj32ELN6hipcub17WarpLoadAlgorithmE3EiEvPT3_S3_ ; -- Begin function _Z16warp_load_kernelILj256ELj16ELj32ELN6hipcub17WarpLoadAlgorithmE3EiEvPT3_S3_
	.globl	_Z16warp_load_kernelILj256ELj16ELj32ELN6hipcub17WarpLoadAlgorithmE3EiEvPT3_S3_
	.p2align	8
	.type	_Z16warp_load_kernelILj256ELj16ELj32ELN6hipcub17WarpLoadAlgorithmE3EiEvPT3_S3_,@function
_Z16warp_load_kernelILj256ELj16ELj32ELN6hipcub17WarpLoadAlgorithmE3EiEvPT3_S3_: ; @_Z16warp_load_kernelILj256ELj16ELj32ELN6hipcub17WarpLoadAlgorithmE3EiEvPT3_S3_
; %bb.0:
	s_load_dwordx4 s[0:3], s[4:5], 0x0
	v_lshrrev_b32_e32 v5, 5, v0
	s_lshl_b32 s4, s6, 12
	v_mov_b32_e32 v2, 0
	v_mbcnt_lo_u32_b32 v7, -1, 0
	v_lshl_or_b32 v1, v5, 9, s4
	v_mov_b32_e32 v6, v2
	v_mov_b32_e32 v8, v2
	;; [unrolled: 1-line block ×3, first 2 shown]
	v_lshlrev_b64 v[3:4], 2, v[1:2]
	v_lshlrev_b32_e32 v1, 2, v7
	v_mov_b32_e32 v12, v2
	v_mov_b32_e32 v14, v2
	;; [unrolled: 1-line block ×7, first 2 shown]
	s_waitcnt lgkmcnt(0)
	v_add_co_u32 v3, vcc_lo, s0, v3
	v_add_co_ci_u32_e64 v4, null, s1, v4, vcc_lo
	v_mov_b32_e32 v26, v2
	v_add_co_u32 v3, vcc_lo, v3, v1
	v_add_co_ci_u32_e64 v4, null, 0, v4, vcc_lo
	v_mov_b32_e32 v28, v2
	s_clause 0xf
	global_load_dword v47, v[3:4], off
	global_load_dword v48, v[3:4], off offset:128
	global_load_dword v49, v[3:4], off offset:256
	;; [unrolled: 1-line block ×15, first 2 shown]
	v_lshlrev_b32_e32 v3, 11, v5
	v_mov_b32_e32 v4, v2
	v_or_b32_e32 v63, v3, v1
	v_or_b32_e32 v1, s4, v0
	v_lshl_or_b32 v64, v7, 6, v3
	v_add_nc_u32_e32 v0, 0x400, v63
	v_or_b32_e32 v3, 0x200, v1
	v_or_b32_e32 v5, 0x300, v1
	v_lshlrev_b64 v[29:30], 2, v[1:2]
	v_or_b32_e32 v7, 0x400, v1
	v_or_b32_e32 v9, 0x500, v1
	v_lshlrev_b64 v[3:4], 2, v[3:4]
	v_lshlrev_b64 v[5:6], 2, v[5:6]
	v_or_b32_e32 v11, 0x600, v1
	v_lshlrev_b64 v[7:8], 2, v[7:8]
	v_add_co_u32 v29, vcc_lo, s2, v29
	v_or_b32_e32 v13, 0x700, v1
	v_lshlrev_b64 v[9:10], 2, v[9:10]
	v_add_co_ci_u32_e64 v30, null, s3, v30, vcc_lo
	v_add_co_u32 v33, vcc_lo, s2, v3
	v_or_b32_e32 v15, 0x800, v1
	v_lshlrev_b64 v[11:12], 2, v[11:12]
	v_add_co_ci_u32_e64 v34, null, s3, v4, vcc_lo
	v_add_co_u32 v35, vcc_lo, s2, v5
	v_or_b32_e32 v17, 0x900, v1
	v_or_b32_e32 v19, 0xa00, v1
	;; [unrolled: 1-line block ×7, first 2 shown]
	v_lshlrev_b64 v[13:14], 2, v[13:14]
	v_add_co_ci_u32_e64 v36, null, s3, v6, vcc_lo
	v_add_co_u32 v37, vcc_lo, s2, v7
	v_lshlrev_b64 v[15:16], 2, v[15:16]
	v_add_co_ci_u32_e64 v38, null, s3, v8, vcc_lo
	v_add_co_u32 v39, vcc_lo, s2, v9
	v_lshlrev_b64 v[17:18], 2, v[17:18]
	v_lshlrev_b64 v[31:32], 2, v[1:2]
	v_add_co_ci_u32_e64 v40, null, s3, v10, vcc_lo
	v_add_co_u32 v41, vcc_lo, s2, v11
	v_lshlrev_b64 v[19:20], 2, v[19:20]
	v_add_co_ci_u32_e64 v42, null, s3, v12, vcc_lo
	v_add_co_u32 v43, vcc_lo, s2, v13
	;; [unrolled: 3-line block ×6, first 2 shown]
	v_add_co_ci_u32_e64 v21, null, s3, v22, vcc_lo
	v_add_co_u32 v22, vcc_lo, s2, v23
	v_add_co_ci_u32_e64 v23, null, s3, v24, vcc_lo
	v_add_co_u32 v24, vcc_lo, s2, v25
	v_add_co_ci_u32_e64 v25, null, s3, v26, vcc_lo
	v_add_co_u32 v26, vcc_lo, s2, v27
	v_add_co_ci_u32_e64 v27, null, s3, v28, vcc_lo
	v_add_co_u32 v31, vcc_lo, s2, v31
	v_add_co_ci_u32_e64 v32, null, s3, v32, vcc_lo
	s_waitcnt vmcnt(14)
	ds_write2_b32 v63, v47, v48 offset1:32
	s_waitcnt vmcnt(12)
	ds_write2_b32 v63, v49, v50 offset0:64 offset1:96
	s_waitcnt vmcnt(10)
	ds_write2_b32 v63, v51, v52 offset0:128 offset1:160
	;; [unrolled: 2-line block ×3, first 2 shown]
	s_waitcnt vmcnt(6)
	ds_write2_b32 v0, v55, v56 offset1:32
	s_waitcnt vmcnt(4)
	ds_write2_b32 v0, v57, v58 offset0:64 offset1:96
	s_waitcnt vmcnt(2)
	ds_write2_b32 v0, v59, v60 offset0:128 offset1:160
	;; [unrolled: 2-line block ×3, first 2 shown]
	; wave barrier
	ds_read_b128 v[0:3], v64
	ds_read_b128 v[4:7], v64 offset:16
	ds_read_b128 v[8:11], v64 offset:32
	;; [unrolled: 1-line block ×3, first 2 shown]
	s_waitcnt lgkmcnt(3)
	global_store_dword v[29:30], v0, off
	global_store_dword v[29:30], v1, off offset:1024
	global_store_dword v[33:34], v2, off
	global_store_dword v[35:36], v3, off
	s_waitcnt lgkmcnt(2)
	global_store_dword v[37:38], v4, off
	global_store_dword v[39:40], v5, off
	global_store_dword v[41:42], v6, off
	global_store_dword v[43:44], v7, off
	s_waitcnt lgkmcnt(1)
	global_store_dword v[45:46], v8, off
	global_store_dword v[16:17], v9, off
	;; [unrolled: 5-line block ×3, first 2 shown]
	global_store_dword v[26:27], v14, off
	global_store_dword v[31:32], v15, off
	s_endpgm
	.section	.rodata,"a",@progbits
	.p2align	6, 0x0
	.amdhsa_kernel _Z16warp_load_kernelILj256ELj16ELj32ELN6hipcub17WarpLoadAlgorithmE3EiEvPT3_S3_
		.amdhsa_group_segment_fixed_size 16384
		.amdhsa_private_segment_fixed_size 0
		.amdhsa_kernarg_size 16
		.amdhsa_user_sgpr_count 6
		.amdhsa_user_sgpr_private_segment_buffer 1
		.amdhsa_user_sgpr_dispatch_ptr 0
		.amdhsa_user_sgpr_queue_ptr 0
		.amdhsa_user_sgpr_kernarg_segment_ptr 1
		.amdhsa_user_sgpr_dispatch_id 0
		.amdhsa_user_sgpr_flat_scratch_init 0
		.amdhsa_user_sgpr_private_segment_size 0
		.amdhsa_wavefront_size32 1
		.amdhsa_uses_dynamic_stack 0
		.amdhsa_system_sgpr_private_segment_wavefront_offset 0
		.amdhsa_system_sgpr_workgroup_id_x 1
		.amdhsa_system_sgpr_workgroup_id_y 0
		.amdhsa_system_sgpr_workgroup_id_z 0
		.amdhsa_system_sgpr_workgroup_info 0
		.amdhsa_system_vgpr_workitem_id 0
		.amdhsa_next_free_vgpr 65
		.amdhsa_next_free_sgpr 7
		.amdhsa_reserve_vcc 1
		.amdhsa_reserve_flat_scratch 0
		.amdhsa_float_round_mode_32 0
		.amdhsa_float_round_mode_16_64 0
		.amdhsa_float_denorm_mode_32 3
		.amdhsa_float_denorm_mode_16_64 3
		.amdhsa_dx10_clamp 1
		.amdhsa_ieee_mode 1
		.amdhsa_fp16_overflow 0
		.amdhsa_workgroup_processor_mode 1
		.amdhsa_memory_ordered 1
		.amdhsa_forward_progress 1
		.amdhsa_shared_vgpr_count 0
		.amdhsa_exception_fp_ieee_invalid_op 0
		.amdhsa_exception_fp_denorm_src 0
		.amdhsa_exception_fp_ieee_div_zero 0
		.amdhsa_exception_fp_ieee_overflow 0
		.amdhsa_exception_fp_ieee_underflow 0
		.amdhsa_exception_fp_ieee_inexact 0
		.amdhsa_exception_int_div_zero 0
	.end_amdhsa_kernel
	.section	.text._Z16warp_load_kernelILj256ELj16ELj32ELN6hipcub17WarpLoadAlgorithmE3EiEvPT3_S3_,"axG",@progbits,_Z16warp_load_kernelILj256ELj16ELj32ELN6hipcub17WarpLoadAlgorithmE3EiEvPT3_S3_,comdat
.Lfunc_end11:
	.size	_Z16warp_load_kernelILj256ELj16ELj32ELN6hipcub17WarpLoadAlgorithmE3EiEvPT3_S3_, .Lfunc_end11-_Z16warp_load_kernelILj256ELj16ELj32ELN6hipcub17WarpLoadAlgorithmE3EiEvPT3_S3_
                                        ; -- End function
	.set _Z16warp_load_kernelILj256ELj16ELj32ELN6hipcub17WarpLoadAlgorithmE3EiEvPT3_S3_.num_vgpr, 65
	.set _Z16warp_load_kernelILj256ELj16ELj32ELN6hipcub17WarpLoadAlgorithmE3EiEvPT3_S3_.num_agpr, 0
	.set _Z16warp_load_kernelILj256ELj16ELj32ELN6hipcub17WarpLoadAlgorithmE3EiEvPT3_S3_.numbered_sgpr, 7
	.set _Z16warp_load_kernelILj256ELj16ELj32ELN6hipcub17WarpLoadAlgorithmE3EiEvPT3_S3_.num_named_barrier, 0
	.set _Z16warp_load_kernelILj256ELj16ELj32ELN6hipcub17WarpLoadAlgorithmE3EiEvPT3_S3_.private_seg_size, 0
	.set _Z16warp_load_kernelILj256ELj16ELj32ELN6hipcub17WarpLoadAlgorithmE3EiEvPT3_S3_.uses_vcc, 1
	.set _Z16warp_load_kernelILj256ELj16ELj32ELN6hipcub17WarpLoadAlgorithmE3EiEvPT3_S3_.uses_flat_scratch, 0
	.set _Z16warp_load_kernelILj256ELj16ELj32ELN6hipcub17WarpLoadAlgorithmE3EiEvPT3_S3_.has_dyn_sized_stack, 0
	.set _Z16warp_load_kernelILj256ELj16ELj32ELN6hipcub17WarpLoadAlgorithmE3EiEvPT3_S3_.has_recursion, 0
	.set _Z16warp_load_kernelILj256ELj16ELj32ELN6hipcub17WarpLoadAlgorithmE3EiEvPT3_S3_.has_indirect_call, 0
	.section	.AMDGPU.csdata,"",@progbits
; Kernel info:
; codeLenInByte = 1044
; TotalNumSgprs: 9
; NumVgprs: 65
; ScratchSize: 0
; MemoryBound: 0
; FloatMode: 240
; IeeeMode: 1
; LDSByteSize: 16384 bytes/workgroup (compile time only)
; SGPRBlocks: 0
; VGPRBlocks: 8
; NumSGPRsForWavesPerEU: 9
; NumVGPRsForWavesPerEU: 65
; Occupancy: 12
; WaveLimiterHint : 1
; COMPUTE_PGM_RSRC2:SCRATCH_EN: 0
; COMPUTE_PGM_RSRC2:USER_SGPR: 6
; COMPUTE_PGM_RSRC2:TRAP_HANDLER: 0
; COMPUTE_PGM_RSRC2:TGID_X_EN: 1
; COMPUTE_PGM_RSRC2:TGID_Y_EN: 0
; COMPUTE_PGM_RSRC2:TGID_Z_EN: 0
; COMPUTE_PGM_RSRC2:TIDIG_COMP_CNT: 0
	.section	.text._Z16warp_load_kernelILj256ELj32ELj32ELN6hipcub17WarpLoadAlgorithmE0EiEvPT3_S3_,"axG",@progbits,_Z16warp_load_kernelILj256ELj32ELj32ELN6hipcub17WarpLoadAlgorithmE0EiEvPT3_S3_,comdat
	.protected	_Z16warp_load_kernelILj256ELj32ELj32ELN6hipcub17WarpLoadAlgorithmE0EiEvPT3_S3_ ; -- Begin function _Z16warp_load_kernelILj256ELj32ELj32ELN6hipcub17WarpLoadAlgorithmE0EiEvPT3_S3_
	.globl	_Z16warp_load_kernelILj256ELj32ELj32ELN6hipcub17WarpLoadAlgorithmE0EiEvPT3_S3_
	.p2align	8
	.type	_Z16warp_load_kernelILj256ELj32ELj32ELN6hipcub17WarpLoadAlgorithmE0EiEvPT3_S3_,@function
_Z16warp_load_kernelILj256ELj32ELj32ELN6hipcub17WarpLoadAlgorithmE0EiEvPT3_S3_: ; @_Z16warp_load_kernelILj256ELj32ELj32ELN6hipcub17WarpLoadAlgorithmE0EiEvPT3_S3_
; %bb.0:
	s_load_dwordx4 s[0:3], s[4:5], 0x0
	v_lshlrev_b32_e32 v1, 5, v0
	s_lshl_b32 s4, s6, 13
	v_mov_b32_e32 v34, 0
	v_mbcnt_lo_u32_b32 v3, -1, 0
	v_and_or_b32 v33, 0x1c00, v1, s4
	v_mov_b32_e32 v36, v34
	v_lshlrev_b32_e32 v3, 7, v3
	v_mov_b32_e32 v38, v34
	v_lshlrev_b64 v[1:2], 2, v[33:34]
	v_or_b32_e32 v33, s4, v0
	v_mov_b32_e32 v39, v34
	v_mov_b32_e32 v41, v34
	;; [unrolled: 1-line block ×4, first 2 shown]
	v_or_b32_e32 v35, 0x200, v33
	v_or_b32_e32 v37, 0x300, v33
	v_lshlrev_b64 v[51:52], 2, v[33:34]
	s_waitcnt lgkmcnt(0)
	v_add_co_u32 v1, vcc_lo, s0, v1
	v_add_co_ci_u32_e64 v2, null, s1, v2, vcc_lo
	v_lshlrev_b64 v[35:36], 2, v[35:36]
	v_add_co_u32 v29, vcc_lo, v1, v3
	v_add_co_ci_u32_e64 v30, null, 0, v2, vcc_lo
	v_lshlrev_b64 v[37:38], 2, v[37:38]
	v_add_co_u32 v51, vcc_lo, s2, v51
	s_clause 0x7
	global_load_dwordx4 v[1:4], v[29:30], off
	global_load_dwordx4 v[5:8], v[29:30], off offset:16
	global_load_dwordx4 v[9:12], v[29:30], off offset:32
	global_load_dwordx4 v[13:16], v[29:30], off offset:48
	global_load_dwordx4 v[17:20], v[29:30], off offset:64
	global_load_dwordx4 v[21:24], v[29:30], off offset:80
	global_load_dwordx4 v[25:28], v[29:30], off offset:96
	global_load_dwordx4 v[29:32], v[29:30], off offset:112
	v_add_co_ci_u32_e64 v52, null, s3, v52, vcc_lo
	v_add_co_u32 v35, vcc_lo, s2, v35
	v_add_co_ci_u32_e64 v36, null, s3, v36, vcc_lo
	v_add_co_u32 v55, vcc_lo, s2, v37
	v_add_co_ci_u32_e64 v56, null, s3, v38, vcc_lo
	v_or_b32_e32 v38, 0x400, v33
	v_or_b32_e32 v40, 0x500, v33
	;; [unrolled: 1-line block ×4, first 2 shown]
	v_mov_b32_e32 v46, v34
	v_mov_b32_e32 v48, v34
	v_lshlrev_b64 v[40:41], 2, v[40:41]
	v_lshlrev_b64 v[42:43], 2, v[42:43]
	;; [unrolled: 1-line block ×3, first 2 shown]
	v_or_b32_e32 v47, 0x900, v33
	v_mov_b32_e32 v50, v34
	v_or_b32_e32 v49, 0xa00, v33
	v_mov_b32_e32 v53, v34
	v_mov_b32_e32 v54, v34
	;; [unrolled: 1-line block ×3, first 2 shown]
	v_or_b32_e32 v0, 0xe00, v33
	v_mov_b32_e32 v58, v34
	v_or_b32_e32 v57, 0x1800, v33
	v_mov_b32_e32 v60, v34
	v_or_b32_e32 v59, 0x1a00, v33
	v_mov_b32_e32 v62, v34
	v_or_b32_e32 v61, 0x1d00, v33
	s_waitcnt vmcnt(7)
	global_store_dword v[51:52], v1, off
	global_store_dword v[51:52], v2, off offset:1024
	global_store_dword v[35:36], v3, off
	v_lshlrev_b64 v[35:36], 2, v[38:39]
	global_store_dword v[55:56], v4, off
	v_or_b32_e32 v52, 0xb00, v33
	v_mov_b32_e32 v1, v34
	v_mov_b32_e32 v3, v34
	;; [unrolled: 1-line block ×3, first 2 shown]
	v_add_co_u32 v35, vcc_lo, s2, v35
	v_add_co_ci_u32_e64 v36, null, s3, v36, vcc_lo
	v_add_co_u32 v40, vcc_lo, s2, v40
	v_add_co_ci_u32_e64 v41, null, s3, v41, vcc_lo
	;; [unrolled: 2-line block ×4, first 2 shown]
	v_or_b32_e32 v45, 0x800, v33
	s_waitcnt vmcnt(6)
	global_store_dword v[35:36], v5, off
	global_store_dword v[42:43], v7, off
	v_lshlrev_b64 v[42:43], 2, v[47:48]
	v_lshlrev_b64 v[47:48], 2, v[49:50]
	;; [unrolled: 1-line block ×4, first 2 shown]
	v_or_b32_e32 v53, 0xc00, v33
	v_or_b32_e32 v2, 0xf00, v33
	v_lshlrev_b64 v[0:1], 2, v[0:1]
	v_or_b32_e32 v38, 0x1100, v33
	v_add_co_u32 v35, vcc_lo, s2, v35
	v_add_co_ci_u32_e64 v36, null, s3, v36, vcc_lo
	v_add_co_u32 v42, vcc_lo, s2, v42
	v_add_co_ci_u32_e64 v43, null, s3, v43, vcc_lo
	;; [unrolled: 2-line block ×4, first 2 shown]
	s_waitcnt vmcnt(5)
	global_store_dword v[35:36], v9, off
	v_or_b32_e32 v36, 0xd00, v33
	v_lshlrev_b64 v[52:53], 2, v[53:54]
	global_store_dword v[49:50], v12, off
	v_or_b32_e32 v50, 0x1000, v33
	v_lshlrev_b64 v[2:3], 2, v[2:3]
	v_lshlrev_b64 v[35:36], 2, v[36:37]
	v_mov_b32_e32 v44, v34
	global_store_dword v[42:43], v10, off
	v_lshlrev_b64 v[49:50], 2, v[50:51]
	v_add_co_u32 v51, vcc_lo, s2, v52
	v_or_b32_e32 v43, 0x1200, v33
	v_add_co_ci_u32_e64 v52, null, s3, v53, vcc_lo
	v_add_co_u32 v35, vcc_lo, s2, v35
	v_mov_b32_e32 v5, v34
	global_store_dword v[47:48], v11, off
	v_mov_b32_e32 v48, v34
	v_or_b32_e32 v4, 0x1300, v33
	v_or_b32_e32 v45, 0x1700, v33
	;; [unrolled: 1-line block ×3, first 2 shown]
	v_lshlrev_b64 v[37:38], 2, v[38:39]
	v_add_co_ci_u32_e64 v36, null, s3, v36, vcc_lo
	v_add_co_u32 v0, vcc_lo, s2, v0
	global_store_dword v[40:41], v6, off
	v_mov_b32_e32 v41, v34
	v_or_b32_e32 v40, 0x1400, v33
	v_lshlrev_b64 v[42:43], 2, v[43:44]
	v_add_co_ci_u32_e64 v1, null, s3, v1, vcc_lo
	v_add_co_u32 v2, vcc_lo, s2, v2
	v_mov_b32_e32 v7, v34
	v_or_b32_e32 v6, 0x1500, v33
	v_lshlrev_b64 v[4:5], 2, v[4:5]
	v_lshlrev_b64 v[44:45], 2, v[45:46]
	;; [unrolled: 1-line block ×3, first 2 shown]
	v_add_co_ci_u32_e64 v3, null, s3, v3, vcc_lo
	v_add_co_u32 v48, vcc_lo, s2, v49
	global_store_dword v[55:56], v8, off
	v_mov_b32_e32 v56, v34
	v_or_b32_e32 v55, 0x1600, v33
	v_lshlrev_b64 v[39:40], 2, v[40:41]
	v_add_co_ci_u32_e64 v49, null, s3, v50, vcc_lo
	v_add_co_u32 v37, vcc_lo, s2, v37
	v_lshlrev_b64 v[6:7], 2, v[6:7]
	v_add_co_ci_u32_e64 v38, null, s3, v38, vcc_lo
	v_add_co_u32 v41, vcc_lo, s2, v42
	;; [unrolled: 3-line block ×3, first 2 shown]
	v_mov_b32_e32 v9, v34
	v_or_b32_e32 v8, 0x1900, v33
	v_add_co_ci_u32_e64 v5, null, s3, v5, vcc_lo
	v_add_co_u32 v39, vcc_lo, s2, v39
	v_lshlrev_b64 v[56:57], 2, v[57:58]
	v_add_co_ci_u32_e64 v40, null, s3, v40, vcc_lo
	v_add_co_u32 v6, vcc_lo, s2, v6
	v_mov_b32_e32 v11, v34
	v_or_b32_e32 v10, 0x1b00, v33
	v_lshlrev_b64 v[8:9], 2, v[8:9]
	v_add_co_ci_u32_e64 v7, null, s3, v7, vcc_lo
	v_add_co_u32 v53, vcc_lo, s2, v54
	v_lshlrev_b64 v[58:59], 2, v[59:60]
	v_add_co_ci_u32_e64 v54, null, s3, v55, vcc_lo
	v_add_co_u32 v43, vcc_lo, s2, v44
	;; [unrolled: 3-line block ×3, first 2 shown]
	v_add_co_ci_u32_e64 v56, null, s3, v57, vcc_lo
	v_add_co_u32 v8, vcc_lo, s2, v8
	v_lshlrev_b64 v[60:61], 2, v[61:62]
	v_add_co_ci_u32_e64 v9, null, s3, v9, vcc_lo
	v_add_co_u32 v57, vcc_lo, s2, v58
	v_add_co_ci_u32_e64 v58, null, s3, v59, vcc_lo
	v_add_co_u32 v10, vcc_lo, s2, v10
	;; [unrolled: 2-line block ×4, first 2 shown]
	v_add_co_ci_u32_e64 v60, null, s3, v61, vcc_lo
	v_or_b32_e32 v61, 0x1e00, v33
	v_or_b32_e32 v33, 0x1f00, v33
	v_lshlrev_b64 v[61:62], 2, v[61:62]
	v_lshlrev_b64 v[33:34], 2, v[33:34]
	v_add_co_u32 v61, vcc_lo, s2, v61
	v_add_co_ci_u32_e64 v62, null, s3, v62, vcc_lo
	v_add_co_u32 v33, vcc_lo, s2, v33
	v_add_co_ci_u32_e64 v34, null, s3, v34, vcc_lo
	s_waitcnt vmcnt(4)
	global_store_dword v[51:52], v13, off
	global_store_dword v[35:36], v14, off
	global_store_dword v[0:1], v15, off
	global_store_dword v[2:3], v16, off
	s_waitcnt vmcnt(3)
	global_store_dword v[48:49], v17, off
	global_store_dword v[37:38], v18, off
	global_store_dword v[41:42], v19, off
	global_store_dword v[4:5], v20, off
	;; [unrolled: 5-line block ×5, first 2 shown]
	s_endpgm
	.section	.rodata,"a",@progbits
	.p2align	6, 0x0
	.amdhsa_kernel _Z16warp_load_kernelILj256ELj32ELj32ELN6hipcub17WarpLoadAlgorithmE0EiEvPT3_S3_
		.amdhsa_group_segment_fixed_size 0
		.amdhsa_private_segment_fixed_size 0
		.amdhsa_kernarg_size 16
		.amdhsa_user_sgpr_count 6
		.amdhsa_user_sgpr_private_segment_buffer 1
		.amdhsa_user_sgpr_dispatch_ptr 0
		.amdhsa_user_sgpr_queue_ptr 0
		.amdhsa_user_sgpr_kernarg_segment_ptr 1
		.amdhsa_user_sgpr_dispatch_id 0
		.amdhsa_user_sgpr_flat_scratch_init 0
		.amdhsa_user_sgpr_private_segment_size 0
		.amdhsa_wavefront_size32 1
		.amdhsa_uses_dynamic_stack 0
		.amdhsa_system_sgpr_private_segment_wavefront_offset 0
		.amdhsa_system_sgpr_workgroup_id_x 1
		.amdhsa_system_sgpr_workgroup_id_y 0
		.amdhsa_system_sgpr_workgroup_id_z 0
		.amdhsa_system_sgpr_workgroup_info 0
		.amdhsa_system_vgpr_workitem_id 0
		.amdhsa_next_free_vgpr 63
		.amdhsa_next_free_sgpr 7
		.amdhsa_reserve_vcc 1
		.amdhsa_reserve_flat_scratch 0
		.amdhsa_float_round_mode_32 0
		.amdhsa_float_round_mode_16_64 0
		.amdhsa_float_denorm_mode_32 3
		.amdhsa_float_denorm_mode_16_64 3
		.amdhsa_dx10_clamp 1
		.amdhsa_ieee_mode 1
		.amdhsa_fp16_overflow 0
		.amdhsa_workgroup_processor_mode 1
		.amdhsa_memory_ordered 1
		.amdhsa_forward_progress 1
		.amdhsa_shared_vgpr_count 0
		.amdhsa_exception_fp_ieee_invalid_op 0
		.amdhsa_exception_fp_denorm_src 0
		.amdhsa_exception_fp_ieee_div_zero 0
		.amdhsa_exception_fp_ieee_overflow 0
		.amdhsa_exception_fp_ieee_underflow 0
		.amdhsa_exception_fp_ieee_inexact 0
		.amdhsa_exception_int_div_zero 0
	.end_amdhsa_kernel
	.section	.text._Z16warp_load_kernelILj256ELj32ELj32ELN6hipcub17WarpLoadAlgorithmE0EiEvPT3_S3_,"axG",@progbits,_Z16warp_load_kernelILj256ELj32ELj32ELN6hipcub17WarpLoadAlgorithmE0EiEvPT3_S3_,comdat
.Lfunc_end12:
	.size	_Z16warp_load_kernelILj256ELj32ELj32ELN6hipcub17WarpLoadAlgorithmE0EiEvPT3_S3_, .Lfunc_end12-_Z16warp_load_kernelILj256ELj32ELj32ELN6hipcub17WarpLoadAlgorithmE0EiEvPT3_S3_
                                        ; -- End function
	.set _Z16warp_load_kernelILj256ELj32ELj32ELN6hipcub17WarpLoadAlgorithmE0EiEvPT3_S3_.num_vgpr, 63
	.set _Z16warp_load_kernelILj256ELj32ELj32ELN6hipcub17WarpLoadAlgorithmE0EiEvPT3_S3_.num_agpr, 0
	.set _Z16warp_load_kernelILj256ELj32ELj32ELN6hipcub17WarpLoadAlgorithmE0EiEvPT3_S3_.numbered_sgpr, 7
	.set _Z16warp_load_kernelILj256ELj32ELj32ELN6hipcub17WarpLoadAlgorithmE0EiEvPT3_S3_.num_named_barrier, 0
	.set _Z16warp_load_kernelILj256ELj32ELj32ELN6hipcub17WarpLoadAlgorithmE0EiEvPT3_S3_.private_seg_size, 0
	.set _Z16warp_load_kernelILj256ELj32ELj32ELN6hipcub17WarpLoadAlgorithmE0EiEvPT3_S3_.uses_vcc, 1
	.set _Z16warp_load_kernelILj256ELj32ELj32ELN6hipcub17WarpLoadAlgorithmE0EiEvPT3_S3_.uses_flat_scratch, 0
	.set _Z16warp_load_kernelILj256ELj32ELj32ELN6hipcub17WarpLoadAlgorithmE0EiEvPT3_S3_.has_dyn_sized_stack, 0
	.set _Z16warp_load_kernelILj256ELj32ELj32ELN6hipcub17WarpLoadAlgorithmE0EiEvPT3_S3_.has_recursion, 0
	.set _Z16warp_load_kernelILj256ELj32ELj32ELN6hipcub17WarpLoadAlgorithmE0EiEvPT3_S3_.has_indirect_call, 0
	.section	.AMDGPU.csdata,"",@progbits
; Kernel info:
; codeLenInByte = 1540
; TotalNumSgprs: 9
; NumVgprs: 63
; ScratchSize: 0
; MemoryBound: 0
; FloatMode: 240
; IeeeMode: 1
; LDSByteSize: 0 bytes/workgroup (compile time only)
; SGPRBlocks: 0
; VGPRBlocks: 7
; NumSGPRsForWavesPerEU: 9
; NumVGPRsForWavesPerEU: 63
; Occupancy: 16
; WaveLimiterHint : 1
; COMPUTE_PGM_RSRC2:SCRATCH_EN: 0
; COMPUTE_PGM_RSRC2:USER_SGPR: 6
; COMPUTE_PGM_RSRC2:TRAP_HANDLER: 0
; COMPUTE_PGM_RSRC2:TGID_X_EN: 1
; COMPUTE_PGM_RSRC2:TGID_Y_EN: 0
; COMPUTE_PGM_RSRC2:TGID_Z_EN: 0
; COMPUTE_PGM_RSRC2:TIDIG_COMP_CNT: 0
	.section	.text._Z16warp_load_kernelILj256ELj32ELj32ELN6hipcub17WarpLoadAlgorithmE1EiEvPT3_S3_,"axG",@progbits,_Z16warp_load_kernelILj256ELj32ELj32ELN6hipcub17WarpLoadAlgorithmE1EiEvPT3_S3_,comdat
	.protected	_Z16warp_load_kernelILj256ELj32ELj32ELN6hipcub17WarpLoadAlgorithmE1EiEvPT3_S3_ ; -- Begin function _Z16warp_load_kernelILj256ELj32ELj32ELN6hipcub17WarpLoadAlgorithmE1EiEvPT3_S3_
	.globl	_Z16warp_load_kernelILj256ELj32ELj32ELN6hipcub17WarpLoadAlgorithmE1EiEvPT3_S3_
	.p2align	8
	.type	_Z16warp_load_kernelILj256ELj32ELj32ELN6hipcub17WarpLoadAlgorithmE1EiEvPT3_S3_,@function
_Z16warp_load_kernelILj256ELj32ELj32ELN6hipcub17WarpLoadAlgorithmE1EiEvPT3_S3_: ; @_Z16warp_load_kernelILj256ELj32ELj32ELN6hipcub17WarpLoadAlgorithmE1EiEvPT3_S3_
; %bb.0:
	s_load_dwordx4 s[0:3], s[4:5], 0x0
	v_lshlrev_b32_e32 v1, 5, v0
	s_lshl_b32 s4, s6, 13
	v_mov_b32_e32 v2, 0
	v_mbcnt_lo_u32_b32 v5, -1, 0
	v_and_or_b32 v1, 0x1c00, v1, s4
	v_mov_b32_e32 v8, v2
	v_mov_b32_e32 v10, v2
	;; [unrolled: 1-line block ×3, first 2 shown]
	v_lshlrev_b64 v[3:4], 2, v[1:2]
	v_lshlrev_b32_e32 v1, 2, v5
	v_mov_b32_e32 v14, v2
	v_mov_b32_e32 v15, v2
	;; [unrolled: 1-line block ×7, first 2 shown]
	s_waitcnt lgkmcnt(0)
	v_add_co_u32 v3, vcc_lo, s0, v3
	v_add_co_ci_u32_e64 v4, null, s1, v4, vcc_lo
	v_mov_b32_e32 v27, v2
	v_add_co_u32 v3, vcc_lo, v3, v1
	v_add_co_ci_u32_e64 v4, null, 0, v4, vcc_lo
	v_or_b32_e32 v1, s4, v0
	v_add_co_u32 v5, vcc_lo, 0x800, v3
	s_clause 0xb
	global_load_dword v7, v[3:4], off
	global_load_dword v9, v[3:4], off offset:128
	global_load_dword v11, v[3:4], off offset:256
	;; [unrolled: 1-line block ×11, first 2 shown]
	v_add_co_ci_u32_e64 v6, null, 0, v4, vcc_lo
	s_clause 0x13
	global_load_dword v43, v[3:4], off offset:1536
	global_load_dword v44, v[3:4], off offset:1664
	global_load_dword v45, v[3:4], off offset:1792
	global_load_dword v46, v[3:4], off offset:1920
	global_load_dword v47, v[5:6], off
	global_load_dword v48, v[5:6], off offset:128
	global_load_dword v49, v[5:6], off offset:256
	;; [unrolled: 1-line block ×15, first 2 shown]
	v_mov_b32_e32 v4, v2
	v_or_b32_e32 v3, 0x200, v1
	v_lshlrev_b64 v[16:17], 2, v[1:2]
	v_mov_b32_e32 v6, v2
	v_or_b32_e32 v5, 0x300, v1
	v_mov_b32_e32 v29, v2
	v_lshlrev_b64 v[3:4], 2, v[3:4]
	v_mov_b32_e32 v32, v2
	v_add_co_u32 v16, vcc_lo, s2, v16
	v_lshlrev_b64 v[5:6], 2, v[5:6]
	v_add_co_ci_u32_e64 v17, null, s3, v17, vcc_lo
	v_add_co_u32 v3, vcc_lo, s2, v3
	v_add_co_ci_u32_e64 v4, null, s3, v4, vcc_lo
	v_add_co_u32 v5, vcc_lo, s2, v5
	v_add_co_ci_u32_e64 v6, null, s3, v6, vcc_lo
	v_mov_b32_e32 v34, v2
	v_mov_b32_e32 v36, v2
	;; [unrolled: 1-line block ×4, first 2 shown]
	v_or_b32_e32 v39, 0x1b00, v1
	v_mov_b32_e32 v42, v2
	v_or_b32_e32 v41, 0x1d00, v1
	s_waitcnt vmcnt(31)
	global_store_dword v[16:17], v7, off
	s_waitcnt vmcnt(30)
	global_store_dword v[16:17], v9, off offset:1024
	v_or_b32_e32 v7, 0x400, v1
	v_or_b32_e32 v9, 0x500, v1
	s_waitcnt vmcnt(29)
	global_store_dword v[3:4], v11, off
	v_or_b32_e32 v11, 0x600, v1
	s_waitcnt vmcnt(28)
	global_store_dword v[5:6], v13, off
	v_lshlrev_b64 v[7:8], 2, v[7:8]
	v_or_b32_e32 v13, 0x700, v1
	v_lshlrev_b64 v[9:10], 2, v[9:10]
	v_lshlrev_b64 v[11:12], 2, v[11:12]
	v_or_b32_e32 v17, 0x900, v1
	v_mov_b32_e32 v16, v2
	v_add_co_u32 v7, vcc_lo, s2, v7
	v_lshlrev_b64 v[13:14], 2, v[13:14]
	v_add_co_ci_u32_e64 v8, null, s3, v8, vcc_lo
	v_add_co_u32 v9, vcc_lo, s2, v9
	v_add_co_ci_u32_e64 v10, null, s3, v10, vcc_lo
	v_add_co_u32 v11, vcc_lo, s2, v11
	;; [unrolled: 2-line block ×3, first 2 shown]
	v_add_co_ci_u32_e64 v31, null, s3, v14, vcc_lo
	v_or_b32_e32 v14, 0x800, v1
	s_waitcnt vmcnt(27)
	global_store_dword v[7:8], v19, off
	v_or_b32_e32 v19, 0xa00, v1
	s_waitcnt vmcnt(25)
	global_store_dword v[11:12], v24, off
	global_store_dword v[9:10], v21, off
	v_lshlrev_b64 v[11:12], 2, v[14:15]
	v_or_b32_e32 v21, 0xb00, v1
	v_lshlrev_b64 v[14:15], 2, v[17:18]
	v_lshlrev_b64 v[17:18], 2, v[19:20]
	v_or_b32_e32 v24, 0xd00, v1
	s_waitcnt vmcnt(24)
	global_store_dword v[30:31], v26, off
	v_lshlrev_b64 v[19:20], 2, v[21:22]
	v_add_co_u32 v11, vcc_lo, s2, v11
	v_add_co_ci_u32_e64 v12, null, s3, v12, vcc_lo
	v_add_co_u32 v14, vcc_lo, s2, v14
	v_add_co_ci_u32_e64 v15, null, s3, v15, vcc_lo
	;; [unrolled: 2-line block ×3, first 2 shown]
	v_add_co_u32 v19, vcc_lo, s2, v19
	v_or_b32_e32 v22, 0xc00, v1
	v_add_co_ci_u32_e64 v20, null, s3, v20, vcc_lo
	s_waitcnt vmcnt(22)
	global_store_dword v[14:15], v33, off
	v_or_b32_e32 v15, 0xe00, v1
	v_lshlrev_b64 v[22:23], 2, v[22:23]
	v_mov_b32_e32 v21, v2
	s_waitcnt vmcnt(20)
	global_store_dword v[19:20], v37, off
	v_or_b32_e32 v26, 0xf00, v1
	v_or_b32_e32 v20, 0x1800, v1
	v_lshlrev_b64 v[24:25], 2, v[24:25]
	v_mov_b32_e32 v4, v2
	v_or_b32_e32 v3, 0x1000, v1
	v_lshlrev_b64 v[14:15], 2, v[15:16]
	v_mov_b32_e32 v6, v2
	v_mov_b32_e32 v13, v2
	global_store_dword v[11:12], v28, off
	v_or_b32_e32 v5, 0x1100, v1
	v_or_b32_e32 v12, 0x1500, v1
	v_lshlrev_b64 v[26:27], 2, v[26:27]
	v_lshlrev_b64 v[19:20], 2, v[20:21]
	v_add_co_u32 v21, vcc_lo, s2, v22
	v_or_b32_e32 v28, 0x1200, v1
	v_lshlrev_b64 v[3:4], 2, v[3:4]
	v_add_co_ci_u32_e64 v22, null, s3, v23, vcc_lo
	v_add_co_u32 v23, vcc_lo, s2, v24
	v_mov_b32_e32 v8, v2
	v_or_b32_e32 v7, 0x1300, v1
	v_lshlrev_b64 v[5:6], 2, v[5:6]
	v_lshlrev_b64 v[11:12], 2, v[12:13]
	v_add_co_ci_u32_e64 v24, null, s3, v25, vcc_lo
	v_add_co_u32 v13, vcc_lo, s2, v14
	v_mov_b32_e32 v10, v2
	v_or_b32_e32 v9, 0x1400, v1
	v_lshlrev_b64 v[28:29], 2, v[28:29]
	v_add_co_ci_u32_e64 v14, null, s3, v15, vcc_lo
	v_add_co_u32 v25, vcc_lo, s2, v26
	v_lshlrev_b64 v[7:8], 2, v[7:8]
	v_add_co_ci_u32_e64 v26, null, s3, v27, vcc_lo
	v_add_co_u32 v3, vcc_lo, s2, v3
	v_or_b32_e32 v31, 0x1600, v1
	v_lshlrev_b64 v[9:10], 2, v[9:10]
	v_add_co_ci_u32_e64 v4, null, s3, v4, vcc_lo
	v_add_co_u32 v5, vcc_lo, s2, v5
	v_or_b32_e32 v33, 0x1700, v1
	v_add_co_ci_u32_e64 v6, null, s3, v6, vcc_lo
	v_add_co_u32 v27, vcc_lo, s2, v28
	v_lshlrev_b64 v[30:31], 2, v[31:32]
	v_add_co_ci_u32_e64 v28, null, s3, v29, vcc_lo
	v_add_co_u32 v7, vcc_lo, s2, v7
	global_store_dword v[17:18], v35, off
	v_or_b32_e32 v35, 0x1900, v1
	v_lshlrev_b64 v[32:33], 2, v[33:34]
	v_add_co_ci_u32_e64 v8, null, s3, v8, vcc_lo
	v_add_co_u32 v9, vcc_lo, s2, v9
	v_or_b32_e32 v37, 0x1a00, v1
	v_add_co_ci_u32_e64 v10, null, s3, v10, vcc_lo
	v_add_co_u32 v11, vcc_lo, s2, v11
	v_mov_b32_e32 v18, v2
	v_or_b32_e32 v17, 0x1c00, v1
	v_lshlrev_b64 v[34:35], 2, v[35:36]
	v_add_co_ci_u32_e64 v12, null, s3, v12, vcc_lo
	v_add_co_u32 v29, vcc_lo, s2, v30
	v_lshlrev_b64 v[36:37], 2, v[37:38]
	v_add_co_ci_u32_e64 v30, null, s3, v31, vcc_lo
	v_add_co_u32 v31, vcc_lo, s2, v32
	v_lshlrev_b64 v[38:39], 2, v[39:40]
	v_lshlrev_b64 v[16:17], 2, v[17:18]
	v_add_co_ci_u32_e64 v32, null, s3, v33, vcc_lo
	v_add_co_u32 v18, vcc_lo, s2, v19
	v_add_co_ci_u32_e64 v19, null, s3, v20, vcc_lo
	v_add_co_u32 v33, vcc_lo, s2, v34
	v_lshlrev_b64 v[40:41], 2, v[41:42]
	v_add_co_ci_u32_e64 v34, null, s3, v35, vcc_lo
	v_add_co_u32 v35, vcc_lo, s2, v36
	v_add_co_ci_u32_e64 v36, null, s3, v37, vcc_lo
	v_add_co_u32 v37, vcc_lo, s2, v38
	;; [unrolled: 2-line block ×4, first 2 shown]
	v_add_co_ci_u32_e64 v40, null, s3, v41, vcc_lo
	v_or_b32_e32 v41, 0x1e00, v1
	v_or_b32_e32 v1, 0x1f00, v1
	v_lshlrev_b64 v[41:42], 2, v[41:42]
	v_lshlrev_b64 v[0:1], 2, v[1:2]
	v_add_co_u32 v41, vcc_lo, s2, v41
	v_add_co_ci_u32_e64 v42, null, s3, v42, vcc_lo
	v_add_co_u32 v0, vcc_lo, s2, v0
	v_add_co_ci_u32_e64 v1, null, s3, v1, vcc_lo
	s_waitcnt vmcnt(19)
	global_store_dword v[21:22], v43, off
	s_waitcnt vmcnt(18)
	global_store_dword v[23:24], v44, off
	;; [unrolled: 2-line block ×20, first 2 shown]
	s_endpgm
	.section	.rodata,"a",@progbits
	.p2align	6, 0x0
	.amdhsa_kernel _Z16warp_load_kernelILj256ELj32ELj32ELN6hipcub17WarpLoadAlgorithmE1EiEvPT3_S3_
		.amdhsa_group_segment_fixed_size 0
		.amdhsa_private_segment_fixed_size 0
		.amdhsa_kernarg_size 16
		.amdhsa_user_sgpr_count 6
		.amdhsa_user_sgpr_private_segment_buffer 1
		.amdhsa_user_sgpr_dispatch_ptr 0
		.amdhsa_user_sgpr_queue_ptr 0
		.amdhsa_user_sgpr_kernarg_segment_ptr 1
		.amdhsa_user_sgpr_dispatch_id 0
		.amdhsa_user_sgpr_flat_scratch_init 0
		.amdhsa_user_sgpr_private_segment_size 0
		.amdhsa_wavefront_size32 1
		.amdhsa_uses_dynamic_stack 0
		.amdhsa_system_sgpr_private_segment_wavefront_offset 0
		.amdhsa_system_sgpr_workgroup_id_x 1
		.amdhsa_system_sgpr_workgroup_id_y 0
		.amdhsa_system_sgpr_workgroup_id_z 0
		.amdhsa_system_sgpr_workgroup_info 0
		.amdhsa_system_vgpr_workitem_id 0
		.amdhsa_next_free_vgpr 63
		.amdhsa_next_free_sgpr 7
		.amdhsa_reserve_vcc 1
		.amdhsa_reserve_flat_scratch 0
		.amdhsa_float_round_mode_32 0
		.amdhsa_float_round_mode_16_64 0
		.amdhsa_float_denorm_mode_32 3
		.amdhsa_float_denorm_mode_16_64 3
		.amdhsa_dx10_clamp 1
		.amdhsa_ieee_mode 1
		.amdhsa_fp16_overflow 0
		.amdhsa_workgroup_processor_mode 1
		.amdhsa_memory_ordered 1
		.amdhsa_forward_progress 1
		.amdhsa_shared_vgpr_count 0
		.amdhsa_exception_fp_ieee_invalid_op 0
		.amdhsa_exception_fp_denorm_src 0
		.amdhsa_exception_fp_ieee_div_zero 0
		.amdhsa_exception_fp_ieee_overflow 0
		.amdhsa_exception_fp_ieee_underflow 0
		.amdhsa_exception_fp_ieee_inexact 0
		.amdhsa_exception_int_div_zero 0
	.end_amdhsa_kernel
	.section	.text._Z16warp_load_kernelILj256ELj32ELj32ELN6hipcub17WarpLoadAlgorithmE1EiEvPT3_S3_,"axG",@progbits,_Z16warp_load_kernelILj256ELj32ELj32ELN6hipcub17WarpLoadAlgorithmE1EiEvPT3_S3_,comdat
.Lfunc_end13:
	.size	_Z16warp_load_kernelILj256ELj32ELj32ELN6hipcub17WarpLoadAlgorithmE1EiEvPT3_S3_, .Lfunc_end13-_Z16warp_load_kernelILj256ELj32ELj32ELN6hipcub17WarpLoadAlgorithmE1EiEvPT3_S3_
                                        ; -- End function
	.set _Z16warp_load_kernelILj256ELj32ELj32ELN6hipcub17WarpLoadAlgorithmE1EiEvPT3_S3_.num_vgpr, 63
	.set _Z16warp_load_kernelILj256ELj32ELj32ELN6hipcub17WarpLoadAlgorithmE1EiEvPT3_S3_.num_agpr, 0
	.set _Z16warp_load_kernelILj256ELj32ELj32ELN6hipcub17WarpLoadAlgorithmE1EiEvPT3_S3_.numbered_sgpr, 7
	.set _Z16warp_load_kernelILj256ELj32ELj32ELN6hipcub17WarpLoadAlgorithmE1EiEvPT3_S3_.num_named_barrier, 0
	.set _Z16warp_load_kernelILj256ELj32ELj32ELN6hipcub17WarpLoadAlgorithmE1EiEvPT3_S3_.private_seg_size, 0
	.set _Z16warp_load_kernelILj256ELj32ELj32ELN6hipcub17WarpLoadAlgorithmE1EiEvPT3_S3_.uses_vcc, 1
	.set _Z16warp_load_kernelILj256ELj32ELj32ELN6hipcub17WarpLoadAlgorithmE1EiEvPT3_S3_.uses_flat_scratch, 0
	.set _Z16warp_load_kernelILj256ELj32ELj32ELN6hipcub17WarpLoadAlgorithmE1EiEvPT3_S3_.has_dyn_sized_stack, 0
	.set _Z16warp_load_kernelILj256ELj32ELj32ELN6hipcub17WarpLoadAlgorithmE1EiEvPT3_S3_.has_recursion, 0
	.set _Z16warp_load_kernelILj256ELj32ELj32ELN6hipcub17WarpLoadAlgorithmE1EiEvPT3_S3_.has_indirect_call, 0
	.section	.AMDGPU.csdata,"",@progbits
; Kernel info:
; codeLenInByte = 1848
; TotalNumSgprs: 9
; NumVgprs: 63
; ScratchSize: 0
; MemoryBound: 0
; FloatMode: 240
; IeeeMode: 1
; LDSByteSize: 0 bytes/workgroup (compile time only)
; SGPRBlocks: 0
; VGPRBlocks: 7
; NumSGPRsForWavesPerEU: 9
; NumVGPRsForWavesPerEU: 63
; Occupancy: 16
; WaveLimiterHint : 1
; COMPUTE_PGM_RSRC2:SCRATCH_EN: 0
; COMPUTE_PGM_RSRC2:USER_SGPR: 6
; COMPUTE_PGM_RSRC2:TRAP_HANDLER: 0
; COMPUTE_PGM_RSRC2:TGID_X_EN: 1
; COMPUTE_PGM_RSRC2:TGID_Y_EN: 0
; COMPUTE_PGM_RSRC2:TGID_Z_EN: 0
; COMPUTE_PGM_RSRC2:TIDIG_COMP_CNT: 0
	.section	.text._Z16warp_load_kernelILj256ELj32ELj32ELN6hipcub17WarpLoadAlgorithmE2EiEvPT3_S3_,"axG",@progbits,_Z16warp_load_kernelILj256ELj32ELj32ELN6hipcub17WarpLoadAlgorithmE2EiEvPT3_S3_,comdat
	.protected	_Z16warp_load_kernelILj256ELj32ELj32ELN6hipcub17WarpLoadAlgorithmE2EiEvPT3_S3_ ; -- Begin function _Z16warp_load_kernelILj256ELj32ELj32ELN6hipcub17WarpLoadAlgorithmE2EiEvPT3_S3_
	.globl	_Z16warp_load_kernelILj256ELj32ELj32ELN6hipcub17WarpLoadAlgorithmE2EiEvPT3_S3_
	.p2align	8
	.type	_Z16warp_load_kernelILj256ELj32ELj32ELN6hipcub17WarpLoadAlgorithmE2EiEvPT3_S3_,@function
_Z16warp_load_kernelILj256ELj32ELj32ELN6hipcub17WarpLoadAlgorithmE2EiEvPT3_S3_: ; @_Z16warp_load_kernelILj256ELj32ELj32ELN6hipcub17WarpLoadAlgorithmE2EiEvPT3_S3_
; %bb.0:
	s_load_dwordx4 s[0:3], s[4:5], 0x0
	v_lshlrev_b32_e32 v1, 5, v0
	s_lshl_b32 s4, s6, 13
	v_mov_b32_e32 v34, 0
	v_mbcnt_lo_u32_b32 v3, -1, 0
	v_and_or_b32 v33, 0x1c00, v1, s4
	v_mov_b32_e32 v36, v34
	v_lshlrev_b32_e32 v3, 7, v3
	v_mov_b32_e32 v38, v34
	v_lshlrev_b64 v[1:2], 2, v[33:34]
	v_or_b32_e32 v33, s4, v0
	v_mov_b32_e32 v39, v34
	v_mov_b32_e32 v41, v34
	;; [unrolled: 1-line block ×4, first 2 shown]
	v_or_b32_e32 v35, 0x200, v33
	v_or_b32_e32 v37, 0x300, v33
	v_lshlrev_b64 v[51:52], 2, v[33:34]
	s_waitcnt lgkmcnt(0)
	v_add_co_u32 v1, vcc_lo, s0, v1
	v_add_co_ci_u32_e64 v2, null, s1, v2, vcc_lo
	v_lshlrev_b64 v[35:36], 2, v[35:36]
	v_add_co_u32 v29, vcc_lo, v1, v3
	v_add_co_ci_u32_e64 v30, null, 0, v2, vcc_lo
	v_lshlrev_b64 v[37:38], 2, v[37:38]
	v_add_co_u32 v51, vcc_lo, s2, v51
	s_clause 0x7
	global_load_dwordx4 v[1:4], v[29:30], off
	global_load_dwordx4 v[5:8], v[29:30], off offset:16
	global_load_dwordx4 v[9:12], v[29:30], off offset:32
	;; [unrolled: 1-line block ×7, first 2 shown]
	v_add_co_ci_u32_e64 v52, null, s3, v52, vcc_lo
	v_add_co_u32 v35, vcc_lo, s2, v35
	v_add_co_ci_u32_e64 v36, null, s3, v36, vcc_lo
	v_add_co_u32 v55, vcc_lo, s2, v37
	v_add_co_ci_u32_e64 v56, null, s3, v38, vcc_lo
	v_or_b32_e32 v38, 0x400, v33
	v_or_b32_e32 v40, 0x500, v33
	;; [unrolled: 1-line block ×4, first 2 shown]
	v_mov_b32_e32 v46, v34
	v_mov_b32_e32 v48, v34
	v_lshlrev_b64 v[40:41], 2, v[40:41]
	v_lshlrev_b64 v[42:43], 2, v[42:43]
	;; [unrolled: 1-line block ×3, first 2 shown]
	v_or_b32_e32 v47, 0x900, v33
	v_mov_b32_e32 v50, v34
	v_or_b32_e32 v49, 0xa00, v33
	v_mov_b32_e32 v53, v34
	v_mov_b32_e32 v54, v34
	;; [unrolled: 1-line block ×3, first 2 shown]
	v_or_b32_e32 v0, 0xe00, v33
	v_mov_b32_e32 v58, v34
	v_or_b32_e32 v57, 0x1800, v33
	v_mov_b32_e32 v60, v34
	;; [unrolled: 2-line block ×3, first 2 shown]
	v_or_b32_e32 v61, 0x1d00, v33
	s_waitcnt vmcnt(7)
	global_store_dword v[51:52], v1, off
	global_store_dword v[51:52], v2, off offset:1024
	global_store_dword v[35:36], v3, off
	v_lshlrev_b64 v[35:36], 2, v[38:39]
	global_store_dword v[55:56], v4, off
	v_or_b32_e32 v52, 0xb00, v33
	v_mov_b32_e32 v1, v34
	v_mov_b32_e32 v3, v34
	;; [unrolled: 1-line block ×3, first 2 shown]
	v_add_co_u32 v35, vcc_lo, s2, v35
	v_add_co_ci_u32_e64 v36, null, s3, v36, vcc_lo
	v_add_co_u32 v40, vcc_lo, s2, v40
	v_add_co_ci_u32_e64 v41, null, s3, v41, vcc_lo
	;; [unrolled: 2-line block ×4, first 2 shown]
	v_or_b32_e32 v45, 0x800, v33
	s_waitcnt vmcnt(6)
	global_store_dword v[35:36], v5, off
	global_store_dword v[42:43], v7, off
	v_lshlrev_b64 v[42:43], 2, v[47:48]
	v_lshlrev_b64 v[47:48], 2, v[49:50]
	;; [unrolled: 1-line block ×4, first 2 shown]
	v_or_b32_e32 v53, 0xc00, v33
	v_or_b32_e32 v2, 0xf00, v33
	v_lshlrev_b64 v[0:1], 2, v[0:1]
	v_or_b32_e32 v38, 0x1100, v33
	v_add_co_u32 v35, vcc_lo, s2, v35
	v_add_co_ci_u32_e64 v36, null, s3, v36, vcc_lo
	v_add_co_u32 v42, vcc_lo, s2, v42
	v_add_co_ci_u32_e64 v43, null, s3, v43, vcc_lo
	;; [unrolled: 2-line block ×4, first 2 shown]
	s_waitcnt vmcnt(5)
	global_store_dword v[35:36], v9, off
	v_or_b32_e32 v36, 0xd00, v33
	v_lshlrev_b64 v[52:53], 2, v[53:54]
	global_store_dword v[49:50], v12, off
	v_or_b32_e32 v50, 0x1000, v33
	v_lshlrev_b64 v[2:3], 2, v[2:3]
	v_lshlrev_b64 v[35:36], 2, v[36:37]
	v_mov_b32_e32 v44, v34
	global_store_dword v[42:43], v10, off
	v_lshlrev_b64 v[49:50], 2, v[50:51]
	v_add_co_u32 v51, vcc_lo, s2, v52
	v_or_b32_e32 v43, 0x1200, v33
	v_add_co_ci_u32_e64 v52, null, s3, v53, vcc_lo
	v_add_co_u32 v35, vcc_lo, s2, v35
	v_mov_b32_e32 v5, v34
	global_store_dword v[47:48], v11, off
	v_mov_b32_e32 v48, v34
	v_or_b32_e32 v4, 0x1300, v33
	v_or_b32_e32 v45, 0x1700, v33
	;; [unrolled: 1-line block ×3, first 2 shown]
	v_lshlrev_b64 v[37:38], 2, v[38:39]
	v_add_co_ci_u32_e64 v36, null, s3, v36, vcc_lo
	v_add_co_u32 v0, vcc_lo, s2, v0
	global_store_dword v[40:41], v6, off
	v_mov_b32_e32 v41, v34
	v_or_b32_e32 v40, 0x1400, v33
	v_lshlrev_b64 v[42:43], 2, v[43:44]
	v_add_co_ci_u32_e64 v1, null, s3, v1, vcc_lo
	v_add_co_u32 v2, vcc_lo, s2, v2
	v_mov_b32_e32 v7, v34
	v_or_b32_e32 v6, 0x1500, v33
	v_lshlrev_b64 v[4:5], 2, v[4:5]
	v_lshlrev_b64 v[44:45], 2, v[45:46]
	;; [unrolled: 1-line block ×3, first 2 shown]
	v_add_co_ci_u32_e64 v3, null, s3, v3, vcc_lo
	v_add_co_u32 v48, vcc_lo, s2, v49
	global_store_dword v[55:56], v8, off
	v_mov_b32_e32 v56, v34
	v_or_b32_e32 v55, 0x1600, v33
	v_lshlrev_b64 v[39:40], 2, v[40:41]
	v_add_co_ci_u32_e64 v49, null, s3, v50, vcc_lo
	v_add_co_u32 v37, vcc_lo, s2, v37
	v_lshlrev_b64 v[6:7], 2, v[6:7]
	v_add_co_ci_u32_e64 v38, null, s3, v38, vcc_lo
	v_add_co_u32 v41, vcc_lo, s2, v42
	;; [unrolled: 3-line block ×3, first 2 shown]
	v_mov_b32_e32 v9, v34
	v_or_b32_e32 v8, 0x1900, v33
	v_add_co_ci_u32_e64 v5, null, s3, v5, vcc_lo
	v_add_co_u32 v39, vcc_lo, s2, v39
	v_lshlrev_b64 v[56:57], 2, v[57:58]
	v_add_co_ci_u32_e64 v40, null, s3, v40, vcc_lo
	v_add_co_u32 v6, vcc_lo, s2, v6
	v_mov_b32_e32 v11, v34
	v_or_b32_e32 v10, 0x1b00, v33
	v_lshlrev_b64 v[8:9], 2, v[8:9]
	v_add_co_ci_u32_e64 v7, null, s3, v7, vcc_lo
	v_add_co_u32 v53, vcc_lo, s2, v54
	v_lshlrev_b64 v[58:59], 2, v[59:60]
	v_add_co_ci_u32_e64 v54, null, s3, v55, vcc_lo
	v_add_co_u32 v43, vcc_lo, s2, v44
	;; [unrolled: 3-line block ×3, first 2 shown]
	v_add_co_ci_u32_e64 v56, null, s3, v57, vcc_lo
	v_add_co_u32 v8, vcc_lo, s2, v8
	v_lshlrev_b64 v[60:61], 2, v[61:62]
	v_add_co_ci_u32_e64 v9, null, s3, v9, vcc_lo
	v_add_co_u32 v57, vcc_lo, s2, v58
	v_add_co_ci_u32_e64 v58, null, s3, v59, vcc_lo
	v_add_co_u32 v10, vcc_lo, s2, v10
	;; [unrolled: 2-line block ×4, first 2 shown]
	v_add_co_ci_u32_e64 v60, null, s3, v61, vcc_lo
	v_or_b32_e32 v61, 0x1e00, v33
	v_or_b32_e32 v33, 0x1f00, v33
	v_lshlrev_b64 v[61:62], 2, v[61:62]
	v_lshlrev_b64 v[33:34], 2, v[33:34]
	v_add_co_u32 v61, vcc_lo, s2, v61
	v_add_co_ci_u32_e64 v62, null, s3, v62, vcc_lo
	v_add_co_u32 v33, vcc_lo, s2, v33
	v_add_co_ci_u32_e64 v34, null, s3, v34, vcc_lo
	s_waitcnt vmcnt(4)
	global_store_dword v[51:52], v13, off
	global_store_dword v[35:36], v14, off
	global_store_dword v[0:1], v15, off
	global_store_dword v[2:3], v16, off
	s_waitcnt vmcnt(3)
	global_store_dword v[48:49], v17, off
	global_store_dword v[37:38], v18, off
	global_store_dword v[41:42], v19, off
	global_store_dword v[4:5], v20, off
	;; [unrolled: 5-line block ×5, first 2 shown]
	s_endpgm
	.section	.rodata,"a",@progbits
	.p2align	6, 0x0
	.amdhsa_kernel _Z16warp_load_kernelILj256ELj32ELj32ELN6hipcub17WarpLoadAlgorithmE2EiEvPT3_S3_
		.amdhsa_group_segment_fixed_size 0
		.amdhsa_private_segment_fixed_size 0
		.amdhsa_kernarg_size 16
		.amdhsa_user_sgpr_count 6
		.amdhsa_user_sgpr_private_segment_buffer 1
		.amdhsa_user_sgpr_dispatch_ptr 0
		.amdhsa_user_sgpr_queue_ptr 0
		.amdhsa_user_sgpr_kernarg_segment_ptr 1
		.amdhsa_user_sgpr_dispatch_id 0
		.amdhsa_user_sgpr_flat_scratch_init 0
		.amdhsa_user_sgpr_private_segment_size 0
		.amdhsa_wavefront_size32 1
		.amdhsa_uses_dynamic_stack 0
		.amdhsa_system_sgpr_private_segment_wavefront_offset 0
		.amdhsa_system_sgpr_workgroup_id_x 1
		.amdhsa_system_sgpr_workgroup_id_y 0
		.amdhsa_system_sgpr_workgroup_id_z 0
		.amdhsa_system_sgpr_workgroup_info 0
		.amdhsa_system_vgpr_workitem_id 0
		.amdhsa_next_free_vgpr 63
		.amdhsa_next_free_sgpr 7
		.amdhsa_reserve_vcc 1
		.amdhsa_reserve_flat_scratch 0
		.amdhsa_float_round_mode_32 0
		.amdhsa_float_round_mode_16_64 0
		.amdhsa_float_denorm_mode_32 3
		.amdhsa_float_denorm_mode_16_64 3
		.amdhsa_dx10_clamp 1
		.amdhsa_ieee_mode 1
		.amdhsa_fp16_overflow 0
		.amdhsa_workgroup_processor_mode 1
		.amdhsa_memory_ordered 1
		.amdhsa_forward_progress 1
		.amdhsa_shared_vgpr_count 0
		.amdhsa_exception_fp_ieee_invalid_op 0
		.amdhsa_exception_fp_denorm_src 0
		.amdhsa_exception_fp_ieee_div_zero 0
		.amdhsa_exception_fp_ieee_overflow 0
		.amdhsa_exception_fp_ieee_underflow 0
		.amdhsa_exception_fp_ieee_inexact 0
		.amdhsa_exception_int_div_zero 0
	.end_amdhsa_kernel
	.section	.text._Z16warp_load_kernelILj256ELj32ELj32ELN6hipcub17WarpLoadAlgorithmE2EiEvPT3_S3_,"axG",@progbits,_Z16warp_load_kernelILj256ELj32ELj32ELN6hipcub17WarpLoadAlgorithmE2EiEvPT3_S3_,comdat
.Lfunc_end14:
	.size	_Z16warp_load_kernelILj256ELj32ELj32ELN6hipcub17WarpLoadAlgorithmE2EiEvPT3_S3_, .Lfunc_end14-_Z16warp_load_kernelILj256ELj32ELj32ELN6hipcub17WarpLoadAlgorithmE2EiEvPT3_S3_
                                        ; -- End function
	.set _Z16warp_load_kernelILj256ELj32ELj32ELN6hipcub17WarpLoadAlgorithmE2EiEvPT3_S3_.num_vgpr, 63
	.set _Z16warp_load_kernelILj256ELj32ELj32ELN6hipcub17WarpLoadAlgorithmE2EiEvPT3_S3_.num_agpr, 0
	.set _Z16warp_load_kernelILj256ELj32ELj32ELN6hipcub17WarpLoadAlgorithmE2EiEvPT3_S3_.numbered_sgpr, 7
	.set _Z16warp_load_kernelILj256ELj32ELj32ELN6hipcub17WarpLoadAlgorithmE2EiEvPT3_S3_.num_named_barrier, 0
	.set _Z16warp_load_kernelILj256ELj32ELj32ELN6hipcub17WarpLoadAlgorithmE2EiEvPT3_S3_.private_seg_size, 0
	.set _Z16warp_load_kernelILj256ELj32ELj32ELN6hipcub17WarpLoadAlgorithmE2EiEvPT3_S3_.uses_vcc, 1
	.set _Z16warp_load_kernelILj256ELj32ELj32ELN6hipcub17WarpLoadAlgorithmE2EiEvPT3_S3_.uses_flat_scratch, 0
	.set _Z16warp_load_kernelILj256ELj32ELj32ELN6hipcub17WarpLoadAlgorithmE2EiEvPT3_S3_.has_dyn_sized_stack, 0
	.set _Z16warp_load_kernelILj256ELj32ELj32ELN6hipcub17WarpLoadAlgorithmE2EiEvPT3_S3_.has_recursion, 0
	.set _Z16warp_load_kernelILj256ELj32ELj32ELN6hipcub17WarpLoadAlgorithmE2EiEvPT3_S3_.has_indirect_call, 0
	.section	.AMDGPU.csdata,"",@progbits
; Kernel info:
; codeLenInByte = 1540
; TotalNumSgprs: 9
; NumVgprs: 63
; ScratchSize: 0
; MemoryBound: 0
; FloatMode: 240
; IeeeMode: 1
; LDSByteSize: 0 bytes/workgroup (compile time only)
; SGPRBlocks: 0
; VGPRBlocks: 7
; NumSGPRsForWavesPerEU: 9
; NumVGPRsForWavesPerEU: 63
; Occupancy: 16
; WaveLimiterHint : 1
; COMPUTE_PGM_RSRC2:SCRATCH_EN: 0
; COMPUTE_PGM_RSRC2:USER_SGPR: 6
; COMPUTE_PGM_RSRC2:TRAP_HANDLER: 0
; COMPUTE_PGM_RSRC2:TGID_X_EN: 1
; COMPUTE_PGM_RSRC2:TGID_Y_EN: 0
; COMPUTE_PGM_RSRC2:TGID_Z_EN: 0
; COMPUTE_PGM_RSRC2:TIDIG_COMP_CNT: 0
	.section	.text._Z16warp_load_kernelILj256ELj32ELj32ELN6hipcub17WarpLoadAlgorithmE3EiEvPT3_S3_,"axG",@progbits,_Z16warp_load_kernelILj256ELj32ELj32ELN6hipcub17WarpLoadAlgorithmE3EiEvPT3_S3_,comdat
	.protected	_Z16warp_load_kernelILj256ELj32ELj32ELN6hipcub17WarpLoadAlgorithmE3EiEvPT3_S3_ ; -- Begin function _Z16warp_load_kernelILj256ELj32ELj32ELN6hipcub17WarpLoadAlgorithmE3EiEvPT3_S3_
	.globl	_Z16warp_load_kernelILj256ELj32ELj32ELN6hipcub17WarpLoadAlgorithmE3EiEvPT3_S3_
	.p2align	8
	.type	_Z16warp_load_kernelILj256ELj32ELj32ELN6hipcub17WarpLoadAlgorithmE3EiEvPT3_S3_,@function
_Z16warp_load_kernelILj256ELj32ELj32ELN6hipcub17WarpLoadAlgorithmE3EiEvPT3_S3_: ; @_Z16warp_load_kernelILj256ELj32ELj32ELN6hipcub17WarpLoadAlgorithmE3EiEvPT3_S3_
; %bb.0:
	s_load_dwordx4 s[0:3], s[4:5], 0x0
	v_lshrrev_b32_e32 v7, 5, v0
	s_lshl_b32 s4, s6, 13
	v_mov_b32_e32 v2, 0
	v_mbcnt_lo_u32_b32 v9, -1, 0
	v_lshl_or_b32 v1, v7, 10, s4
	v_mov_b32_e32 v8, v2
	v_mov_b32_e32 v10, v2
	;; [unrolled: 1-line block ×3, first 2 shown]
	v_lshlrev_b64 v[3:4], 2, v[1:2]
	v_lshlrev_b32_e32 v1, 2, v9
	v_mov_b32_e32 v14, v2
	v_mov_b32_e32 v16, v2
	;; [unrolled: 1-line block ×7, first 2 shown]
	s_waitcnt lgkmcnt(0)
	v_add_co_u32 v3, vcc_lo, s0, v3
	v_add_co_ci_u32_e64 v4, null, s1, v4, vcc_lo
	v_mov_b32_e32 v28, v2
	v_add_co_u32 v3, vcc_lo, v3, v1
	v_add_co_ci_u32_e64 v4, null, 0, v4, vcc_lo
	v_mov_b32_e32 v30, v2
	v_add_co_u32 v5, vcc_lo, 0x800, v3
	s_clause 0x7
	global_load_dword v95, v[3:4], off
	global_load_dword v96, v[3:4], off offset:128
	global_load_dword v97, v[3:4], off offset:256
	;; [unrolled: 1-line block ×7, first 2 shown]
	v_add_co_ci_u32_e64 v6, null, 0, v4, vcc_lo
	s_clause 0x17
	global_load_dword v103, v[3:4], off offset:1024
	global_load_dword v104, v[3:4], off offset:1152
	;; [unrolled: 1-line block ×8, first 2 shown]
	global_load_dword v111, v[5:6], off
	global_load_dword v112, v[5:6], off offset:128
	global_load_dword v113, v[5:6], off offset:256
	;; [unrolled: 1-line block ×15, first 2 shown]
	v_lshlrev_b32_e32 v3, 12, v7
	v_mov_b32_e32 v4, v2
	v_mov_b32_e32 v6, v2
	;; [unrolled: 1-line block ×4, first 2 shown]
	v_or_b32_e32 v127, v3, v1
	v_or_b32_e32 v1, s4, v0
	v_lshl_or_b32 v128, v9, 7, v3
	v_mov_b32_e32 v36, v2
	v_mov_b32_e32 v38, v2
	;; [unrolled: 1-line block ×3, first 2 shown]
	v_or_b32_e32 v3, 0x200, v1
	v_or_b32_e32 v5, 0x300, v1
	v_lshlrev_b64 v[61:62], 2, v[1:2]
	v_or_b32_e32 v7, 0x400, v1
	v_or_b32_e32 v9, 0x500, v1
	v_lshlrev_b64 v[3:4], 2, v[3:4]
	v_lshlrev_b64 v[5:6], 2, v[5:6]
	v_or_b32_e32 v11, 0x600, v1
	v_lshlrev_b64 v[7:8], 2, v[7:8]
	v_add_co_u32 v61, vcc_lo, s2, v61
	v_or_b32_e32 v13, 0x700, v1
	v_lshlrev_b64 v[9:10], 2, v[9:10]
	v_add_co_ci_u32_e64 v62, null, s3, v62, vcc_lo
	v_add_co_u32 v65, vcc_lo, s2, v3
	v_or_b32_e32 v15, 0x800, v1
	v_lshlrev_b64 v[11:12], 2, v[11:12]
	v_add_co_ci_u32_e64 v66, null, s3, v4, vcc_lo
	;; [unrolled: 4-line block ×14, first 2 shown]
	v_add_co_u32 v91, vcc_lo, s2, v29
	v_mov_b32_e32 v42, v2
	v_or_b32_e32 v41, 0x1500, v1
	v_lshlrev_b64 v[37:38], 2, v[37:38]
	v_add_co_ci_u32_e64 v92, null, s3, v30, vcc_lo
	v_add_co_u32 v93, vcc_lo, s2, v31
	v_mov_b32_e32 v44, v2
	v_or_b32_e32 v43, 0x1600, v1
	v_lshlrev_b64 v[39:40], 2, v[39:40]
	v_add_co_ci_u32_e64 v94, null, s3, v32, vcc_lo
	v_add_co_u32 v32, vcc_lo, s2, v33
	v_mov_b32_e32 v46, v2
	v_or_b32_e32 v45, 0x1700, v1
	v_lshlrev_b64 v[41:42], 2, v[41:42]
	v_add_co_ci_u32_e64 v33, null, s3, v34, vcc_lo
	v_add_co_u32 v34, vcc_lo, s2, v35
	v_mov_b32_e32 v48, v2
	v_or_b32_e32 v47, 0x1800, v1
	v_lshlrev_b64 v[43:44], 2, v[43:44]
	v_add_co_ci_u32_e64 v35, null, s3, v36, vcc_lo
	v_add_co_u32 v36, vcc_lo, s2, v37
	v_mov_b32_e32 v50, v2
	v_or_b32_e32 v49, 0x1900, v1
	v_or_b32_e32 v51, 0x1a00, v1
	;; [unrolled: 1-line block ×7, first 2 shown]
	v_lshlrev_b64 v[45:46], 2, v[45:46]
	v_add_co_ci_u32_e64 v37, null, s3, v38, vcc_lo
	v_add_co_u32 v38, vcc_lo, s2, v39
	v_mov_b32_e32 v52, v2
	v_lshlrev_b64 v[47:48], 2, v[47:48]
	v_add_co_ci_u32_e64 v39, null, s3, v40, vcc_lo
	v_add_co_u32 v40, vcc_lo, s2, v41
	v_mov_b32_e32 v54, v2
	v_add_nc_u32_e32 v0, 0x400, v127
	v_mov_b32_e32 v56, v2
	v_mov_b32_e32 v58, v2
	v_mov_b32_e32 v60, v2
	v_add_nc_u32_e32 v129, 0x800, v127
	v_add_nc_u32_e32 v130, 0xc00, v127
	v_lshlrev_b64 v[49:50], 2, v[49:50]
	v_lshlrev_b64 v[63:64], 2, v[1:2]
	v_add_co_ci_u32_e64 v41, null, s3, v42, vcc_lo
	v_add_co_u32 v42, vcc_lo, s2, v43
	v_lshlrev_b64 v[51:52], 2, v[51:52]
	v_add_co_ci_u32_e64 v43, null, s3, v44, vcc_lo
	v_add_co_u32 v44, vcc_lo, s2, v45
	;; [unrolled: 3-line block ×6, first 2 shown]
	v_add_co_ci_u32_e64 v53, null, s3, v54, vcc_lo
	v_add_co_u32 v54, vcc_lo, s2, v55
	v_add_co_ci_u32_e64 v55, null, s3, v56, vcc_lo
	v_add_co_u32 v56, vcc_lo, s2, v57
	;; [unrolled: 2-line block ×4, first 2 shown]
	v_add_co_ci_u32_e64 v64, null, s3, v64, vcc_lo
	s_waitcnt vmcnt(30)
	ds_write2_b32 v127, v95, v96 offset1:32
	s_waitcnt vmcnt(28)
	ds_write2_b32 v127, v97, v98 offset0:64 offset1:96
	s_waitcnt vmcnt(26)
	ds_write2_b32 v127, v99, v100 offset0:128 offset1:160
	s_waitcnt vmcnt(24)
	ds_write2_b32 v127, v101, v102 offset0:192 offset1:224
	s_waitcnt vmcnt(22)
	ds_write2_b32 v0, v103, v104 offset1:32
	s_waitcnt vmcnt(20)
	ds_write2_b32 v0, v105, v106 offset0:64 offset1:96
	s_waitcnt vmcnt(18)
	ds_write2_b32 v0, v107, v108 offset0:128 offset1:160
	s_waitcnt vmcnt(16)
	ds_write2_b32 v0, v109, v110 offset0:192 offset1:224
	;; [unrolled: 8-line block ×4, first 2 shown]
	; wave barrier
	ds_read_b128 v[0:3], v128
	ds_read_b128 v[4:7], v128 offset:16
	ds_read_b128 v[8:11], v128 offset:32
	;; [unrolled: 1-line block ×7, first 2 shown]
	s_waitcnt lgkmcnt(7)
	global_store_dword v[61:62], v0, off
	global_store_dword v[61:62], v1, off offset:1024
	global_store_dword v[65:66], v2, off
	global_store_dword v[67:68], v3, off
	s_waitcnt lgkmcnt(6)
	global_store_dword v[69:70], v4, off
	global_store_dword v[71:72], v5, off
	global_store_dword v[73:74], v6, off
	global_store_dword v[75:76], v7, off
	s_waitcnt lgkmcnt(5)
	global_store_dword v[77:78], v8, off
	global_store_dword v[79:80], v9, off
	;; [unrolled: 5-line block ×7, first 2 shown]
	global_store_dword v[58:59], v30, off
	global_store_dword v[63:64], v31, off
	s_endpgm
	.section	.rodata,"a",@progbits
	.p2align	6, 0x0
	.amdhsa_kernel _Z16warp_load_kernelILj256ELj32ELj32ELN6hipcub17WarpLoadAlgorithmE3EiEvPT3_S3_
		.amdhsa_group_segment_fixed_size 32768
		.amdhsa_private_segment_fixed_size 0
		.amdhsa_kernarg_size 16
		.amdhsa_user_sgpr_count 6
		.amdhsa_user_sgpr_private_segment_buffer 1
		.amdhsa_user_sgpr_dispatch_ptr 0
		.amdhsa_user_sgpr_queue_ptr 0
		.amdhsa_user_sgpr_kernarg_segment_ptr 1
		.amdhsa_user_sgpr_dispatch_id 0
		.amdhsa_user_sgpr_flat_scratch_init 0
		.amdhsa_user_sgpr_private_segment_size 0
		.amdhsa_wavefront_size32 1
		.amdhsa_uses_dynamic_stack 0
		.amdhsa_system_sgpr_private_segment_wavefront_offset 0
		.amdhsa_system_sgpr_workgroup_id_x 1
		.amdhsa_system_sgpr_workgroup_id_y 0
		.amdhsa_system_sgpr_workgroup_id_z 0
		.amdhsa_system_sgpr_workgroup_info 0
		.amdhsa_system_vgpr_workitem_id 0
		.amdhsa_next_free_vgpr 131
		.amdhsa_next_free_sgpr 7
		.amdhsa_reserve_vcc 1
		.amdhsa_reserve_flat_scratch 0
		.amdhsa_float_round_mode_32 0
		.amdhsa_float_round_mode_16_64 0
		.amdhsa_float_denorm_mode_32 3
		.amdhsa_float_denorm_mode_16_64 3
		.amdhsa_dx10_clamp 1
		.amdhsa_ieee_mode 1
		.amdhsa_fp16_overflow 0
		.amdhsa_workgroup_processor_mode 1
		.amdhsa_memory_ordered 1
		.amdhsa_forward_progress 1
		.amdhsa_shared_vgpr_count 0
		.amdhsa_exception_fp_ieee_invalid_op 0
		.amdhsa_exception_fp_denorm_src 0
		.amdhsa_exception_fp_ieee_div_zero 0
		.amdhsa_exception_fp_ieee_overflow 0
		.amdhsa_exception_fp_ieee_underflow 0
		.amdhsa_exception_fp_ieee_inexact 0
		.amdhsa_exception_int_div_zero 0
	.end_amdhsa_kernel
	.section	.text._Z16warp_load_kernelILj256ELj32ELj32ELN6hipcub17WarpLoadAlgorithmE3EiEvPT3_S3_,"axG",@progbits,_Z16warp_load_kernelILj256ELj32ELj32ELN6hipcub17WarpLoadAlgorithmE3EiEvPT3_S3_,comdat
.Lfunc_end15:
	.size	_Z16warp_load_kernelILj256ELj32ELj32ELN6hipcub17WarpLoadAlgorithmE3EiEvPT3_S3_, .Lfunc_end15-_Z16warp_load_kernelILj256ELj32ELj32ELN6hipcub17WarpLoadAlgorithmE3EiEvPT3_S3_
                                        ; -- End function
	.set _Z16warp_load_kernelILj256ELj32ELj32ELN6hipcub17WarpLoadAlgorithmE3EiEvPT3_S3_.num_vgpr, 131
	.set _Z16warp_load_kernelILj256ELj32ELj32ELN6hipcub17WarpLoadAlgorithmE3EiEvPT3_S3_.num_agpr, 0
	.set _Z16warp_load_kernelILj256ELj32ELj32ELN6hipcub17WarpLoadAlgorithmE3EiEvPT3_S3_.numbered_sgpr, 7
	.set _Z16warp_load_kernelILj256ELj32ELj32ELN6hipcub17WarpLoadAlgorithmE3EiEvPT3_S3_.num_named_barrier, 0
	.set _Z16warp_load_kernelILj256ELj32ELj32ELN6hipcub17WarpLoadAlgorithmE3EiEvPT3_S3_.private_seg_size, 0
	.set _Z16warp_load_kernelILj256ELj32ELj32ELN6hipcub17WarpLoadAlgorithmE3EiEvPT3_S3_.uses_vcc, 1
	.set _Z16warp_load_kernelILj256ELj32ELj32ELN6hipcub17WarpLoadAlgorithmE3EiEvPT3_S3_.uses_flat_scratch, 0
	.set _Z16warp_load_kernelILj256ELj32ELj32ELN6hipcub17WarpLoadAlgorithmE3EiEvPT3_S3_.has_dyn_sized_stack, 0
	.set _Z16warp_load_kernelILj256ELj32ELj32ELN6hipcub17WarpLoadAlgorithmE3EiEvPT3_S3_.has_recursion, 0
	.set _Z16warp_load_kernelILj256ELj32ELj32ELN6hipcub17WarpLoadAlgorithmE3EiEvPT3_S3_.has_indirect_call, 0
	.section	.AMDGPU.csdata,"",@progbits
; Kernel info:
; codeLenInByte = 2060
; TotalNumSgprs: 9
; NumVgprs: 131
; ScratchSize: 0
; MemoryBound: 0
; FloatMode: 240
; IeeeMode: 1
; LDSByteSize: 32768 bytes/workgroup (compile time only)
; SGPRBlocks: 0
; VGPRBlocks: 16
; NumSGPRsForWavesPerEU: 9
; NumVGPRsForWavesPerEU: 131
; Occupancy: 7
; WaveLimiterHint : 1
; COMPUTE_PGM_RSRC2:SCRATCH_EN: 0
; COMPUTE_PGM_RSRC2:USER_SGPR: 6
; COMPUTE_PGM_RSRC2:TRAP_HANDLER: 0
; COMPUTE_PGM_RSRC2:TGID_X_EN: 1
; COMPUTE_PGM_RSRC2:TGID_Y_EN: 0
; COMPUTE_PGM_RSRC2:TGID_Z_EN: 0
; COMPUTE_PGM_RSRC2:TIDIG_COMP_CNT: 0
	.section	.text._Z16warp_load_kernelILj256ELj64ELj32ELN6hipcub17WarpLoadAlgorithmE0EiEvPT3_S3_,"axG",@progbits,_Z16warp_load_kernelILj256ELj64ELj32ELN6hipcub17WarpLoadAlgorithmE0EiEvPT3_S3_,comdat
	.protected	_Z16warp_load_kernelILj256ELj64ELj32ELN6hipcub17WarpLoadAlgorithmE0EiEvPT3_S3_ ; -- Begin function _Z16warp_load_kernelILj256ELj64ELj32ELN6hipcub17WarpLoadAlgorithmE0EiEvPT3_S3_
	.globl	_Z16warp_load_kernelILj256ELj64ELj32ELN6hipcub17WarpLoadAlgorithmE0EiEvPT3_S3_
	.p2align	8
	.type	_Z16warp_load_kernelILj256ELj64ELj32ELN6hipcub17WarpLoadAlgorithmE0EiEvPT3_S3_,@function
_Z16warp_load_kernelILj256ELj64ELj32ELN6hipcub17WarpLoadAlgorithmE0EiEvPT3_S3_: ; @_Z16warp_load_kernelILj256ELj64ELj32ELN6hipcub17WarpLoadAlgorithmE0EiEvPT3_S3_
; %bb.0:
	s_load_dwordx4 s[0:3], s[4:5], 0x0
	v_lshlrev_b32_e32 v1, 6, v0
	s_lshl_b32 s4, s6, 14
	v_mov_b32_e32 v49, 0
	v_mbcnt_lo_u32_b32 v3, -1, 0
	v_and_or_b32 v48, 0x3800, v1, s4
	v_mov_b32_e32 v67, v49
	v_lshlrev_b32_e32 v3, 8, v3
	v_mov_b32_e32 v69, v49
	v_lshlrev_b64 v[1:2], 2, v[48:49]
	v_or_b32_e32 v48, s4, v0
	v_mov_b32_e32 v76, v49
	v_mov_b32_e32 v78, v49
	v_or_b32_e32 v0, 0x200, v48
	v_lshlrev_b64 v[4:5], 2, v[48:49]
	v_or_b32_e32 v66, 0x400, v48
	s_waitcnt lgkmcnt(0)
	v_add_co_u32 v1, vcc_lo, s0, v1
	v_add_co_ci_u32_e64 v2, null, s1, v2, vcc_lo
	v_or_b32_e32 v68, 0x500, v48
	v_add_co_u32 v12, vcc_lo, v1, v3
	v_add_co_ci_u32_e64 v13, null, 0, v2, vcc_lo
	v_mov_b32_e32 v1, v49
	v_mov_b32_e32 v3, v49
	v_or_b32_e32 v2, 0x300, v48
	s_clause 0xb
	global_load_dwordx4 v[50:53], v[12:13], off
	global_load_dwordx4 v[54:57], v[12:13], off offset:16
	global_load_dwordx4 v[58:61], v[12:13], off offset:32
	;; [unrolled: 1-line block ×11, first 2 shown]
	v_lshlrev_b64 v[0:1], 2, v[0:1]
	v_lshlrev_b64 v[2:3], 2, v[2:3]
	v_add_co_u32 v70, vcc_lo, s2, v4
	v_add_co_ci_u32_e64 v71, null, s3, v5, vcc_lo
	v_add_co_u32 v72, vcc_lo, s2, v0
	v_add_co_ci_u32_e64 v73, null, s3, v1, vcc_lo
	;; [unrolled: 2-line block ×3, first 2 shown]
	s_clause 0x3
	global_load_dwordx4 v[0:3], v[12:13], off offset:240
	global_load_dwordx4 v[4:7], v[12:13], off offset:224
	;; [unrolled: 1-line block ×4, first 2 shown]
	v_lshlrev_b64 v[66:67], 2, v[66:67]
	v_lshlrev_b64 v[68:69], 2, v[68:69]
	v_or_b32_e32 v77, 0x2700, v48
	s_waitcnt vmcnt(15)
	global_store_dword v[70:71], v50, off
	global_store_dword v[70:71], v51, off offset:1024
	v_mov_b32_e32 v51, v49
	v_or_b32_e32 v50, 0x600, v48
	v_mov_b32_e32 v71, v49
	v_or_b32_e32 v70, 0x700, v48
	v_add_co_u32 v66, vcc_lo, s2, v66
	v_lshlrev_b64 v[50:51], 2, v[50:51]
	v_add_co_ci_u32_e64 v67, null, s3, v67, vcc_lo
	v_lshlrev_b64 v[70:71], 2, v[70:71]
	v_add_co_u32 v68, vcc_lo, s2, v68
	v_add_co_ci_u32_e64 v69, null, s3, v69, vcc_lo
	v_add_co_u32 v50, vcc_lo, s2, v50
	v_add_co_ci_u32_e64 v51, null, s3, v51, vcc_lo
	;; [unrolled: 2-line block ×3, first 2 shown]
	global_store_dword v[72:73], v52, off
	v_mov_b32_e32 v52, v49
	s_waitcnt vmcnt(14)
	global_store_dword v[50:51], v56, off
	v_or_b32_e32 v51, 0x800, v48
	v_mov_b32_e32 v72, v49
	global_store_dword v[70:71], v57, off
	v_or_b32_e32 v71, 0x900, v48
	global_store_dword v[74:75], v53, off
	v_mov_b32_e32 v74, v49
	v_or_b32_e32 v73, 0xa00, v48
	v_lshlrev_b64 v[50:51], 2, v[51:52]
	global_store_dword v[66:67], v54, off
	v_mov_b32_e32 v54, v49
	v_or_b32_e32 v53, 0xb00, v48
	global_store_dword v[68:69], v55, off
	v_lshlrev_b64 v[68:69], 2, v[71:72]
	v_lshlrev_b64 v[70:71], 2, v[73:74]
	v_add_co_u32 v50, vcc_lo, s2, v50
	v_lshlrev_b64 v[53:54], 2, v[53:54]
	v_add_co_ci_u32_e64 v51, null, s3, v51, vcc_lo
	v_add_co_u32 v68, vcc_lo, s2, v68
	v_add_co_ci_u32_e64 v69, null, s3, v69, vcc_lo
	v_add_co_u32 v70, vcc_lo, s2, v70
	;; [unrolled: 2-line block ×3, first 2 shown]
	v_mov_b32_e32 v55, v49
	v_add_co_ci_u32_e64 v73, null, s3, v54, vcc_lo
	v_or_b32_e32 v54, 0xc00, v48
	v_mov_b32_e32 v67, v49
	v_or_b32_e32 v66, 0xd00, v48
	v_mov_b32_e32 v57, v49
	v_or_b32_e32 v56, 0xe00, v48
	v_lshlrev_b64 v[54:55], 2, v[54:55]
	s_waitcnt vmcnt(13)
	global_store_dword v[50:51], v58, off
	v_lshlrev_b64 v[66:67], 2, v[66:67]
	v_or_b32_e32 v51, 0xf00, v48
	v_lshlrev_b64 v[56:57], 2, v[56:57]
	v_mov_b32_e32 v53, v49
	v_add_co_u32 v54, vcc_lo, s2, v54
	v_add_co_ci_u32_e64 v55, null, s3, v55, vcc_lo
	v_add_co_u32 v66, vcc_lo, s2, v66
	v_add_co_ci_u32_e64 v67, null, s3, v67, vcc_lo
	v_add_co_u32 v56, vcc_lo, s2, v56
	v_lshlrev_b64 v[50:51], 2, v[51:52]
	v_add_co_ci_u32_e64 v57, null, s3, v57, vcc_lo
	v_or_b32_e32 v52, 0x1000, v48
	v_mov_b32_e32 v58, v49
	global_store_dword v[68:69], v59, off
	v_add_co_u32 v50, vcc_lo, s2, v50
	s_waitcnt vmcnt(12)
	global_store_dword v[56:57], v64, off
	v_or_b32_e32 v57, 0x1100, v48
	v_mov_b32_e32 v68, v49
	v_add_co_ci_u32_e64 v51, null, s3, v51, vcc_lo
	global_store_dword v[66:67], v63, off
	v_or_b32_e32 v67, 0x1200, v48
	v_lshlrev_b64 v[52:53], 2, v[52:53]
	v_lshlrev_b64 v[56:57], 2, v[57:58]
	global_store_dword v[50:51], v65, off
	global_store_dword v[70:71], v60, off
	v_lshlrev_b64 v[65:66], 2, v[67:68]
	v_mov_b32_e32 v60, v49
	v_or_b32_e32 v59, 0x1300, v48
	v_add_co_u32 v52, vcc_lo, s2, v52
	v_add_co_ci_u32_e64 v53, null, s3, v53, vcc_lo
	v_add_co_u32 v56, vcc_lo, s2, v56
	global_store_dword v[72:73], v61, off
	v_mov_b32_e32 v61, v49
	v_lshlrev_b64 v[58:59], 2, v[59:60]
	v_add_co_ci_u32_e64 v57, null, s3, v57, vcc_lo
	v_add_co_u32 v65, vcc_lo, s2, v65
	v_or_b32_e32 v60, 0x1400, v48
	v_mov_b32_e32 v69, v49
	v_add_co_ci_u32_e64 v66, null, s3, v66, vcc_lo
	v_or_b32_e32 v68, 0x1500, v48
	v_lshlrev_b64 v[60:61], 2, v[60:61]
	v_mov_b32_e32 v71, v49
	s_waitcnt vmcnt(11)
	global_store_dword v[65:66], v46, off
	v_or_b32_e32 v70, 0x1600, v48
	v_lshlrev_b64 v[65:66], 2, v[68:69]
	global_store_dword v[54:55], v62, off
	v_mov_b32_e32 v54, v49
	v_add_co_u32 v58, vcc_lo, s2, v58
	global_store_dword v[52:53], v44, off
	v_or_b32_e32 v53, 0x1700, v48
	v_add_co_ci_u32_e64 v59, null, s3, v59, vcc_lo
	v_add_co_u32 v60, vcc_lo, s2, v60
	v_lshlrev_b64 v[68:69], 2, v[70:71]
	v_add_co_ci_u32_e64 v61, null, s3, v61, vcc_lo
	v_add_co_u32 v65, vcc_lo, s2, v65
	v_lshlrev_b64 v[52:53], 2, v[53:54]
	v_add_co_ci_u32_e64 v66, null, s3, v66, vcc_lo
	v_mov_b32_e32 v55, v49
	v_or_b32_e32 v54, 0x1800, v48
	v_add_co_u32 v68, vcc_lo, s2, v68
	v_mov_b32_e32 v62, v49
	global_store_dword v[56:57], v45, off
	global_store_dword v[58:59], v47, off
	s_waitcnt vmcnt(10)
	global_store_dword v[60:61], v40, off
	global_store_dword v[65:66], v41, off
	v_or_b32_e32 v61, 0x1900, v48
	v_add_co_ci_u32_e64 v69, null, s3, v69, vcc_lo
	v_add_co_u32 v52, vcc_lo, s2, v52
	v_mov_b32_e32 v51, v49
	v_or_b32_e32 v50, 0x1a00, v48
	v_add_co_ci_u32_e64 v53, null, s3, v53, vcc_lo
	v_lshlrev_b64 v[54:55], 2, v[54:55]
	v_mov_b32_e32 v64, v49
	v_or_b32_e32 v63, 0x1b00, v48
	v_lshlrev_b64 v[60:61], 2, v[61:62]
	v_mov_b32_e32 v67, v49
	v_or_b32_e32 v66, 0x1c00, v48
	v_lshlrev_b64 v[50:51], 2, v[50:51]
	v_mov_b32_e32 v44, v49
	global_store_dword v[52:53], v43, off
	v_or_b32_e32 v43, 0x1d00, v48
	v_lshlrev_b64 v[62:63], 2, v[63:64]
	v_add_co_u32 v54, vcc_lo, s2, v54
	v_mov_b32_e32 v57, v49
	v_or_b32_e32 v56, 0x1e00, v48
	v_lshlrev_b64 v[64:65], 2, v[66:67]
	v_add_co_ci_u32_e64 v55, null, s3, v55, vcc_lo
	v_add_co_u32 v60, vcc_lo, s2, v60
	v_mov_b32_e32 v46, v49
	v_or_b32_e32 v45, 0x1f00, v48
	global_store_dword v[68:69], v42, off
	v_lshlrev_b64 v[42:43], 2, v[43:44]
	v_add_co_ci_u32_e64 v61, null, s3, v61, vcc_lo
	v_add_co_u32 v50, vcc_lo, s2, v50
	v_mov_b32_e32 v59, v49
	v_or_b32_e32 v58, 0x2000, v48
	v_lshlrev_b64 v[56:57], 2, v[56:57]
	v_add_co_ci_u32_e64 v51, null, s3, v51, vcc_lo
	v_add_co_u32 v62, vcc_lo, s2, v62
	v_mov_b32_e32 v72, v49
	v_or_b32_e32 v71, 0x2100, v48
	v_lshlrev_b64 v[44:45], 2, v[45:46]
	v_add_co_ci_u32_e64 v63, null, s3, v63, vcc_lo
	v_add_co_u32 v64, vcc_lo, s2, v64
	v_mov_b32_e32 v70, v49
	v_or_b32_e32 v69, 0x2200, v48
	v_lshlrev_b64 v[46:47], 2, v[58:59]
	v_add_co_ci_u32_e64 v65, null, s3, v65, vcc_lo
	v_add_co_u32 v42, vcc_lo, s2, v42
	v_or_b32_e32 v73, 0x2300, v48
	v_lshlrev_b64 v[58:59], 2, v[71:72]
	v_add_co_ci_u32_e64 v43, null, s3, v43, vcc_lo
	v_add_co_u32 v56, vcc_lo, s2, v56
	v_mov_b32_e32 v41, v49
	v_or_b32_e32 v40, 0x2400, v48
	v_lshlrev_b64 v[66:67], 2, v[69:70]
	v_add_co_ci_u32_e64 v57, null, s3, v57, vcc_lo
	v_add_co_u32 v44, vcc_lo, s2, v44
	v_or_b32_e32 v75, 0x2500, v48
	v_lshlrev_b64 v[68:69], 2, v[73:74]
	v_add_co_ci_u32_e64 v45, null, s3, v45, vcc_lo
	v_add_co_u32 v46, vcc_lo, s2, v46
	v_mov_b32_e32 v53, v49
	v_or_b32_e32 v52, 0x2600, v48
	v_lshlrev_b64 v[40:41], 2, v[40:41]
	v_add_co_ci_u32_e64 v47, null, s3, v47, vcc_lo
	v_add_co_u32 v58, vcc_lo, s2, v58
	v_lshlrev_b64 v[70:71], 2, v[75:76]
	v_add_co_ci_u32_e64 v59, null, s3, v59, vcc_lo
	v_add_co_u32 v66, vcc_lo, s2, v66
	v_add_co_ci_u32_e64 v67, null, s3, v67, vcc_lo
	v_add_co_u32 v68, vcc_lo, s2, v68
	v_mov_b32_e32 v75, v49
	v_or_b32_e32 v74, 0x2800, v48
	v_lshlrev_b64 v[52:53], 2, v[52:53]
	v_add_co_ci_u32_e64 v69, null, s3, v69, vcc_lo
	v_add_co_u32 v40, vcc_lo, s2, v40
	s_waitcnt vmcnt(9)
	global_store_dword v[54:55], v24, off
	v_mov_b32_e32 v55, v49
	v_or_b32_e32 v54, 0x2900, v48
	v_lshlrev_b64 v[72:73], 2, v[77:78]
	v_add_co_ci_u32_e64 v41, null, s3, v41, vcc_lo
	v_add_co_u32 v70, vcc_lo, s2, v70
	global_store_dword v[60:61], v25, off
	v_or_b32_e32 v24, 0x2a00, v48
	v_mov_b32_e32 v25, v49
	v_lshlrev_b64 v[74:75], 2, v[74:75]
	v_add_co_ci_u32_e64 v71, null, s3, v71, vcc_lo
	global_store_dword v[50:51], v26, off
	global_store_dword v[62:63], v27, off
	s_waitcnt vmcnt(8)
	global_store_dword v[64:65], v32, off
	global_store_dword v[42:43], v33, off
	;; [unrolled: 1-line block ×4, first 2 shown]
	s_waitcnt vmcnt(6)
	global_store_dword v[46:47], v36, off
	global_store_dword v[58:59], v37, off
	;; [unrolled: 1-line block ×6, first 2 shown]
	v_or_b32_e32 v28, 0x2b00, v48
	v_mov_b32_e32 v29, v49
	v_add_co_u32 v52, vcc_lo, s2, v52
	v_lshlrev_b64 v[26:27], 2, v[54:55]
	v_add_co_ci_u32_e64 v53, null, s3, v53, vcc_lo
	v_add_co_u32 v72, vcc_lo, s2, v72
	v_lshlrev_b64 v[24:25], 2, v[24:25]
	v_add_co_ci_u32_e64 v73, null, s3, v73, vcc_lo
	v_add_co_u32 v74, vcc_lo, s2, v74
	v_lshlrev_b64 v[28:29], 2, v[28:29]
	v_add_co_ci_u32_e64 v75, null, s3, v75, vcc_lo
	v_add_co_u32 v26, vcc_lo, s2, v26
	v_add_co_ci_u32_e64 v27, null, s3, v27, vcc_lo
	v_add_co_u32 v24, vcc_lo, s2, v24
	global_store_dword v[52:53], v30, off
	global_store_dword v[72:73], v31, off
	v_add_co_ci_u32_e64 v25, null, s3, v25, vcc_lo
	v_add_co_u32 v28, vcc_lo, s2, v28
	v_or_b32_e32 v30, 0x2c00, v48
	v_mov_b32_e32 v31, v49
	v_add_co_ci_u32_e64 v29, null, s3, v29, vcc_lo
	v_or_b32_e32 v32, 0x2d00, v48
	v_mov_b32_e32 v33, v49
	s_waitcnt vmcnt(4)
	global_store_dword v[74:75], v20, off
	global_store_dword v[26:27], v21, off
	;; [unrolled: 1-line block ×3, first 2 shown]
	v_lshlrev_b64 v[20:21], 2, v[30:31]
	global_store_dword v[28:29], v23, off
	v_lshlrev_b64 v[22:23], 2, v[32:33]
	v_or_b32_e32 v24, 0x2e00, v48
	v_mov_b32_e32 v25, v49
	v_or_b32_e32 v26, 0x2f00, v48
	v_add_co_u32 v20, vcc_lo, s2, v20
	v_add_co_ci_u32_e64 v21, null, s3, v21, vcc_lo
	v_add_co_u32 v22, vcc_lo, s2, v22
	v_add_co_ci_u32_e64 v23, null, s3, v23, vcc_lo
	v_mov_b32_e32 v27, v49
	v_lshlrev_b64 v[24:25], 2, v[24:25]
	v_or_b32_e32 v28, 0x3000, v48
	v_mov_b32_e32 v29, v49
	global_store_dword v[20:21], v16, off
	global_store_dword v[22:23], v17, off
	v_or_b32_e32 v22, 0x3100, v48
	v_mov_b32_e32 v23, v49
	v_lshlrev_b64 v[16:17], 2, v[26:27]
	v_lshlrev_b64 v[20:21], 2, v[28:29]
	v_add_co_u32 v24, vcc_lo, s2, v24
	v_lshlrev_b64 v[22:23], 2, v[22:23]
	v_add_co_ci_u32_e64 v25, null, s3, v25, vcc_lo
	v_add_co_u32 v16, vcc_lo, s2, v16
	v_add_co_ci_u32_e64 v17, null, s3, v17, vcc_lo
	v_add_co_u32 v20, vcc_lo, s2, v20
	global_store_dword v[24:25], v18, off
	v_add_co_ci_u32_e64 v21, null, s3, v21, vcc_lo
	v_add_co_u32 v22, vcc_lo, s2, v22
	v_or_b32_e32 v24, 0x3200, v48
	v_mov_b32_e32 v25, v49
	v_add_co_ci_u32_e64 v23, null, s3, v23, vcc_lo
	v_or_b32_e32 v26, 0x3300, v48
	global_store_dword v[16:17], v19, off
	s_waitcnt vmcnt(0)
	global_store_dword v[20:21], v12, off
	v_lshlrev_b64 v[16:17], 2, v[24:25]
	global_store_dword v[22:23], v13, off
	v_or_b32_e32 v18, 0x3400, v48
	v_lshlrev_b64 v[12:13], 2, v[26:27]
	v_mov_b32_e32 v19, v49
	v_or_b32_e32 v20, 0x3500, v48
	v_add_co_u32 v16, vcc_lo, s2, v16
	v_add_co_ci_u32_e64 v17, null, s3, v17, vcc_lo
	v_add_co_u32 v12, vcc_lo, s2, v12
	v_add_co_ci_u32_e64 v13, null, s3, v13, vcc_lo
	v_mov_b32_e32 v21, v49
	v_lshlrev_b64 v[18:19], 2, v[18:19]
	v_or_b32_e32 v22, 0x3600, v48
	v_mov_b32_e32 v23, v49
	global_store_dword v[16:17], v14, off
	global_store_dword v[12:13], v15, off
	v_or_b32_e32 v16, 0x3700, v48
	v_mov_b32_e32 v17, v49
	v_lshlrev_b64 v[12:13], 2, v[20:21]
	v_lshlrev_b64 v[14:15], 2, v[22:23]
	v_add_co_u32 v18, vcc_lo, s2, v18
	v_lshlrev_b64 v[16:17], 2, v[16:17]
	v_add_co_ci_u32_e64 v19, null, s3, v19, vcc_lo
	v_add_co_u32 v12, vcc_lo, s2, v12
	v_add_co_ci_u32_e64 v13, null, s3, v13, vcc_lo
	v_add_co_u32 v14, vcc_lo, s2, v14
	global_store_dword v[18:19], v8, off
	v_add_co_ci_u32_e64 v15, null, s3, v15, vcc_lo
	v_add_co_u32 v16, vcc_lo, s2, v16
	v_or_b32_e32 v18, 0x3800, v48
	v_mov_b32_e32 v19, v49
	v_add_co_ci_u32_e64 v17, null, s3, v17, vcc_lo
	v_or_b32_e32 v20, 0x3900, v48
	global_store_dword v[12:13], v9, off
	global_store_dword v[14:15], v10, off
	v_or_b32_e32 v12, 0x3a00, v48
	v_mov_b32_e32 v13, v49
	v_lshlrev_b64 v[8:9], 2, v[18:19]
	global_store_dword v[16:17], v11, off
	v_lshlrev_b64 v[10:11], 2, v[20:21]
	v_or_b32_e32 v14, 0x3b00, v48
	v_lshlrev_b64 v[12:13], 2, v[12:13]
	v_mov_b32_e32 v15, v49
	v_add_co_u32 v8, vcc_lo, s2, v8
	v_add_co_ci_u32_e64 v9, null, s3, v9, vcc_lo
	v_add_co_u32 v10, vcc_lo, s2, v10
	v_add_co_ci_u32_e64 v11, null, s3, v11, vcc_lo
	;; [unrolled: 2-line block ×3, first 2 shown]
	v_or_b32_e32 v16, 0x3c00, v48
	v_mov_b32_e32 v17, v49
	global_store_dword v[8:9], v4, off
	global_store_dword v[10:11], v5, off
	v_or_b32_e32 v10, 0x3d00, v48
	v_mov_b32_e32 v11, v49
	v_lshlrev_b64 v[4:5], 2, v[14:15]
	global_store_dword v[12:13], v6, off
	v_or_b32_e32 v12, 0x3e00, v48
	v_mov_b32_e32 v13, v49
	v_lshlrev_b64 v[8:9], 2, v[16:17]
	v_or_b32_e32 v48, 0x3f00, v48
	v_lshlrev_b64 v[10:11], 2, v[10:11]
	v_add_co_u32 v4, vcc_lo, s2, v4
	v_lshlrev_b64 v[12:13], 2, v[12:13]
	v_add_co_ci_u32_e64 v5, null, s3, v5, vcc_lo
	v_add_co_u32 v8, vcc_lo, s2, v8
	v_lshlrev_b64 v[14:15], 2, v[48:49]
	v_add_co_ci_u32_e64 v9, null, s3, v9, vcc_lo
	v_add_co_u32 v10, vcc_lo, s2, v10
	v_add_co_ci_u32_e64 v11, null, s3, v11, vcc_lo
	v_add_co_u32 v12, vcc_lo, s2, v12
	;; [unrolled: 2-line block ×3, first 2 shown]
	v_add_co_ci_u32_e64 v15, null, s3, v15, vcc_lo
	global_store_dword v[4:5], v7, off
	global_store_dword v[8:9], v0, off
	;; [unrolled: 1-line block ×5, first 2 shown]
	s_endpgm
	.section	.rodata,"a",@progbits
	.p2align	6, 0x0
	.amdhsa_kernel _Z16warp_load_kernelILj256ELj64ELj32ELN6hipcub17WarpLoadAlgorithmE0EiEvPT3_S3_
		.amdhsa_group_segment_fixed_size 0
		.amdhsa_private_segment_fixed_size 0
		.amdhsa_kernarg_size 16
		.amdhsa_user_sgpr_count 6
		.amdhsa_user_sgpr_private_segment_buffer 1
		.amdhsa_user_sgpr_dispatch_ptr 0
		.amdhsa_user_sgpr_queue_ptr 0
		.amdhsa_user_sgpr_kernarg_segment_ptr 1
		.amdhsa_user_sgpr_dispatch_id 0
		.amdhsa_user_sgpr_flat_scratch_init 0
		.amdhsa_user_sgpr_private_segment_size 0
		.amdhsa_wavefront_size32 1
		.amdhsa_uses_dynamic_stack 0
		.amdhsa_system_sgpr_private_segment_wavefront_offset 0
		.amdhsa_system_sgpr_workgroup_id_x 1
		.amdhsa_system_sgpr_workgroup_id_y 0
		.amdhsa_system_sgpr_workgroup_id_z 0
		.amdhsa_system_sgpr_workgroup_info 0
		.amdhsa_system_vgpr_workitem_id 0
		.amdhsa_next_free_vgpr 79
		.amdhsa_next_free_sgpr 7
		.amdhsa_reserve_vcc 1
		.amdhsa_reserve_flat_scratch 0
		.amdhsa_float_round_mode_32 0
		.amdhsa_float_round_mode_16_64 0
		.amdhsa_float_denorm_mode_32 3
		.amdhsa_float_denorm_mode_16_64 3
		.amdhsa_dx10_clamp 1
		.amdhsa_ieee_mode 1
		.amdhsa_fp16_overflow 0
		.amdhsa_workgroup_processor_mode 1
		.amdhsa_memory_ordered 1
		.amdhsa_forward_progress 1
		.amdhsa_shared_vgpr_count 0
		.amdhsa_exception_fp_ieee_invalid_op 0
		.amdhsa_exception_fp_denorm_src 0
		.amdhsa_exception_fp_ieee_div_zero 0
		.amdhsa_exception_fp_ieee_overflow 0
		.amdhsa_exception_fp_ieee_underflow 0
		.amdhsa_exception_fp_ieee_inexact 0
		.amdhsa_exception_int_div_zero 0
	.end_amdhsa_kernel
	.section	.text._Z16warp_load_kernelILj256ELj64ELj32ELN6hipcub17WarpLoadAlgorithmE0EiEvPT3_S3_,"axG",@progbits,_Z16warp_load_kernelILj256ELj64ELj32ELN6hipcub17WarpLoadAlgorithmE0EiEvPT3_S3_,comdat
.Lfunc_end16:
	.size	_Z16warp_load_kernelILj256ELj64ELj32ELN6hipcub17WarpLoadAlgorithmE0EiEvPT3_S3_, .Lfunc_end16-_Z16warp_load_kernelILj256ELj64ELj32ELN6hipcub17WarpLoadAlgorithmE0EiEvPT3_S3_
                                        ; -- End function
	.set _Z16warp_load_kernelILj256ELj64ELj32ELN6hipcub17WarpLoadAlgorithmE0EiEvPT3_S3_.num_vgpr, 79
	.set _Z16warp_load_kernelILj256ELj64ELj32ELN6hipcub17WarpLoadAlgorithmE0EiEvPT3_S3_.num_agpr, 0
	.set _Z16warp_load_kernelILj256ELj64ELj32ELN6hipcub17WarpLoadAlgorithmE0EiEvPT3_S3_.numbered_sgpr, 7
	.set _Z16warp_load_kernelILj256ELj64ELj32ELN6hipcub17WarpLoadAlgorithmE0EiEvPT3_S3_.num_named_barrier, 0
	.set _Z16warp_load_kernelILj256ELj64ELj32ELN6hipcub17WarpLoadAlgorithmE0EiEvPT3_S3_.private_seg_size, 0
	.set _Z16warp_load_kernelILj256ELj64ELj32ELN6hipcub17WarpLoadAlgorithmE0EiEvPT3_S3_.uses_vcc, 1
	.set _Z16warp_load_kernelILj256ELj64ELj32ELN6hipcub17WarpLoadAlgorithmE0EiEvPT3_S3_.uses_flat_scratch, 0
	.set _Z16warp_load_kernelILj256ELj64ELj32ELN6hipcub17WarpLoadAlgorithmE0EiEvPT3_S3_.has_dyn_sized_stack, 0
	.set _Z16warp_load_kernelILj256ELj64ELj32ELN6hipcub17WarpLoadAlgorithmE0EiEvPT3_S3_.has_recursion, 0
	.set _Z16warp_load_kernelILj256ELj64ELj32ELN6hipcub17WarpLoadAlgorithmE0EiEvPT3_S3_.has_indirect_call, 0
	.section	.AMDGPU.csdata,"",@progbits
; Kernel info:
; codeLenInByte = 3024
; TotalNumSgprs: 9
; NumVgprs: 79
; ScratchSize: 0
; MemoryBound: 0
; FloatMode: 240
; IeeeMode: 1
; LDSByteSize: 0 bytes/workgroup (compile time only)
; SGPRBlocks: 0
; VGPRBlocks: 9
; NumSGPRsForWavesPerEU: 9
; NumVGPRsForWavesPerEU: 79
; Occupancy: 12
; WaveLimiterHint : 1
; COMPUTE_PGM_RSRC2:SCRATCH_EN: 0
; COMPUTE_PGM_RSRC2:USER_SGPR: 6
; COMPUTE_PGM_RSRC2:TRAP_HANDLER: 0
; COMPUTE_PGM_RSRC2:TGID_X_EN: 1
; COMPUTE_PGM_RSRC2:TGID_Y_EN: 0
; COMPUTE_PGM_RSRC2:TGID_Z_EN: 0
; COMPUTE_PGM_RSRC2:TIDIG_COMP_CNT: 0
	.section	.text._Z16warp_load_kernelILj256ELj64ELj32ELN6hipcub17WarpLoadAlgorithmE1EiEvPT3_S3_,"axG",@progbits,_Z16warp_load_kernelILj256ELj64ELj32ELN6hipcub17WarpLoadAlgorithmE1EiEvPT3_S3_,comdat
	.protected	_Z16warp_load_kernelILj256ELj64ELj32ELN6hipcub17WarpLoadAlgorithmE1EiEvPT3_S3_ ; -- Begin function _Z16warp_load_kernelILj256ELj64ELj32ELN6hipcub17WarpLoadAlgorithmE1EiEvPT3_S3_
	.globl	_Z16warp_load_kernelILj256ELj64ELj32ELN6hipcub17WarpLoadAlgorithmE1EiEvPT3_S3_
	.p2align	8
	.type	_Z16warp_load_kernelILj256ELj64ELj32ELN6hipcub17WarpLoadAlgorithmE1EiEvPT3_S3_,@function
_Z16warp_load_kernelILj256ELj64ELj32ELN6hipcub17WarpLoadAlgorithmE1EiEvPT3_S3_: ; @_Z16warp_load_kernelILj256ELj64ELj32ELN6hipcub17WarpLoadAlgorithmE1EiEvPT3_S3_
; %bb.0:
	s_load_dwordx4 s[0:3], s[4:5], 0x0
	v_lshlrev_b32_e32 v1, 6, v0
	s_lshl_b32 s4, s6, 14
	v_mov_b32_e32 v2, 0
	v_mbcnt_lo_u32_b32 v5, -1, 0
	v_and_or_b32 v1, 0x3800, v1, s4
	v_mov_b32_e32 v55, v2
	v_mov_b32_e32 v57, v2
	;; [unrolled: 1-line block ×3, first 2 shown]
	v_lshlrev_b64 v[3:4], 2, v[1:2]
	v_lshlrev_b32_e32 v1, 2, v5
	v_mov_b32_e32 v76, v2
	s_waitcnt lgkmcnt(0)
	v_add_co_u32 v3, vcc_lo, s0, v3
	v_add_co_ci_u32_e64 v4, null, s1, v4, vcc_lo
	v_add_co_u32 v3, vcc_lo, v3, v1
	v_add_co_ci_u32_e64 v4, null, 0, v4, vcc_lo
	v_or_b32_e32 v1, s4, v0
	v_add_co_u32 v5, vcc_lo, v3, 0x1000
	s_clause 0xf
	global_load_dword v58, v[3:4], off
	global_load_dword v64, v[3:4], off offset:128
	global_load_dword v65, v[3:4], off offset:256
	;; [unrolled: 1-line block ×15, first 2 shown]
	v_add_co_ci_u32_e64 v6, null, 0, v4, vcc_lo
	v_add_co_u32 v7, vcc_lo, 0x800, v3
	v_add_co_ci_u32_e64 v8, null, 0, v4, vcc_lo
	s_clause 0xf
	global_load_dword v49, v[5:6], off offset:-2048
	global_load_dword v48, v[7:8], off offset:128
	global_load_dword v47, v[7:8], off offset:256
	;; [unrolled: 1-line block ×15, first 2 shown]
	v_add_co_u32 v7, vcc_lo, 0x1000, v3
	v_add_co_ci_u32_e64 v8, null, 0, v4, vcc_lo
	s_clause 0x4
	global_load_dword v29, v[5:6], off
	global_load_dword v30, v[7:8], off offset:128
	global_load_dword v26, v[7:8], off offset:256
	;; [unrolled: 1-line block ×4, first 2 shown]
	v_lshlrev_b64 v[5:6], 2, v[1:2]
	v_or_b32_e32 v54, 0x200, v1
	v_or_b32_e32 v56, 0x300, v1
	v_add_co_u32 v60, vcc_lo, s2, v5
	v_add_co_ci_u32_e64 v61, null, s3, v6, vcc_lo
	v_add_co_u32 v62, vcc_lo, 0x1800, v3
	v_add_co_ci_u32_e64 v63, null, 0, v4, vcc_lo
	s_clause 0x1a
	global_load_dword v45, v[7:8], off offset:640
	global_load_dword v27, v[7:8], off offset:768
	;; [unrolled: 1-line block ×11, first 2 shown]
	global_load_dword v18, v[62:63], off
	global_load_dword v16, v[62:63], off offset:128
	global_load_dword v14, v[62:63], off offset:256
	;; [unrolled: 1-line block ×15, first 2 shown]
	v_lshlrev_b64 v[54:55], 2, v[54:55]
	v_lshlrev_b64 v[56:57], 2, v[56:57]
	v_mov_b32_e32 v62, v2
	v_mov_b32_e32 v63, v2
	s_waitcnt vmcnt(62)
	global_store_dword v[60:61], v58, off
	global_store_dword v[60:61], v64, off offset:1024
	v_add_co_u32 v54, vcc_lo, s2, v54
	v_or_b32_e32 v58, 0x400, v1
	v_add_co_ci_u32_e64 v55, null, s3, v55, vcc_lo
	v_or_b32_e32 v61, 0x500, v1
	v_add_co_u32 v56, vcc_lo, s2, v56
	s_waitcnt vmcnt(61)
	global_store_dword v[54:55], v65, off
	v_lshlrev_b64 v[64:65], 2, v[58:59]
	v_lshlrev_b64 v[61:62], 2, v[61:62]
	v_add_co_ci_u32_e64 v57, null, s3, v57, vcc_lo
	v_mov_b32_e32 v60, v2
	v_or_b32_e32 v59, 0x600, v1
	v_add_co_u32 v64, vcc_lo, s2, v64
	s_waitcnt vmcnt(60)
	global_store_dword v[56:57], v66, off
	v_add_co_ci_u32_e64 v65, null, s3, v65, vcc_lo
	v_add_co_u32 v66, vcc_lo, s2, v61
	v_add_co_ci_u32_e64 v67, null, s3, v62, vcc_lo
	v_or_b32_e32 v62, 0x700, v1
	v_mov_b32_e32 v55, v2
	v_lshlrev_b64 v[59:60], 2, v[59:60]
	v_or_b32_e32 v54, 0x800, v1
	v_mov_b32_e32 v57, v2
	v_or_b32_e32 v56, 0x900, v1
	v_lshlrev_b64 v[62:63], 2, v[62:63]
	v_mov_b32_e32 v61, v2
	v_lshlrev_b64 v[54:55], 2, v[54:55]
	v_add_co_u32 v59, vcc_lo, s2, v59
	v_lshlrev_b64 v[56:57], 2, v[56:57]
	v_add_co_ci_u32_e64 v60, null, s3, v60, vcc_lo
	v_add_co_u32 v62, vcc_lo, s2, v62
	v_add_co_ci_u32_e64 v63, null, s3, v63, vcc_lo
	v_add_co_u32 v54, vcc_lo, s2, v54
	s_waitcnt vmcnt(58)
	global_store_dword v[66:67], v69, off
	s_waitcnt vmcnt(57)
	global_store_dword v[59:60], v70, off
	v_or_b32_e32 v60, 0xa00, v1
	v_add_co_ci_u32_e64 v55, null, s3, v55, vcc_lo
	v_add_co_u32 v67, vcc_lo, s2, v56
	global_store_dword v[64:65], v68, off
	v_mov_b32_e32 v58, v2
	v_add_co_ci_u32_e64 v68, null, s3, v57, vcc_lo
	v_or_b32_e32 v57, 0xb00, v1
	v_lshlrev_b64 v[60:61], 2, v[60:61]
	v_mov_b32_e32 v64, v2
	s_waitcnt vmcnt(56)
	global_store_dword v[62:63], v71, off
	v_or_b32_e32 v63, 0xc00, v1
	v_lshlrev_b64 v[57:58], 2, v[57:58]
	v_mov_b32_e32 v66, v2
	v_add_co_u32 v60, vcc_lo, s2, v60
	v_add_co_ci_u32_e64 v61, null, s3, v61, vcc_lo
	v_add_co_u32 v57, vcc_lo, s2, v57
	v_add_co_ci_u32_e64 v58, null, s3, v58, vcc_lo
	v_or_b32_e32 v65, 0xd00, v1
	v_lshlrev_b64 v[63:64], 2, v[63:64]
	v_mov_b32_e32 v59, v2
	s_waitcnt vmcnt(52)
	global_store_dword v[57:58], v53, off
	v_or_b32_e32 v58, 0xe00, v1
	v_lshlrev_b64 v[65:66], 2, v[65:66]
	v_mov_b32_e32 v62, v2
	v_add_co_u32 v63, vcc_lo, s2, v63
	v_lshlrev_b64 v[58:59], 2, v[58:59]
	v_add_co_ci_u32_e64 v64, null, s3, v64, vcc_lo
	v_add_co_u32 v65, vcc_lo, s2, v65
	global_store_dword v[60:61], v74, off
	v_or_b32_e32 v61, 0xf00, v1
	v_add_co_ci_u32_e64 v66, null, s3, v66, vcc_lo
	v_mov_b32_e32 v56, v2
	global_store_dword v[54:55], v72, off
	v_or_b32_e32 v55, 0x1000, v1
	v_mov_b32_e32 v54, v2
	v_add_co_u32 v58, vcc_lo, s2, v58
	v_or_b32_e32 v53, 0x1100, v1
	v_lshlrev_b64 v[61:62], 2, v[61:62]
	global_store_dword v[67:68], v73, off
	v_mov_b32_e32 v67, v2
	s_waitcnt vmcnt(50)
	global_store_dword v[65:66], v75, off
	v_add_co_ci_u32_e64 v59, null, s3, v59, vcc_lo
	v_or_b32_e32 v66, 0x1200, v1
	v_lshlrev_b64 v[55:56], 2, v[55:56]
	v_lshlrev_b64 v[53:54], 2, v[53:54]
	v_add_co_u32 v61, vcc_lo, s2, v61
	s_waitcnt vmcnt(49)
	global_store_dword v[58:59], v52, off
	v_lshlrev_b64 v[58:59], 2, v[66:67]
	v_add_co_ci_u32_e64 v62, null, s3, v62, vcc_lo
	v_add_co_u32 v55, vcc_lo, s2, v55
	v_mov_b32_e32 v69, v2
	v_or_b32_e32 v68, 0x1300, v1
	v_add_co_ci_u32_e64 v56, null, s3, v56, vcc_lo
	v_add_co_u32 v53, vcc_lo, s2, v53
	v_add_co_ci_u32_e64 v54, null, s3, v54, vcc_lo
	v_add_co_u32 v58, vcc_lo, s2, v58
	s_waitcnt vmcnt(48)
	global_store_dword v[61:62], v51, off
	v_lshlrev_b64 v[61:62], 2, v[68:69]
	v_add_co_ci_u32_e64 v59, null, s3, v59, vcc_lo
	v_mov_b32_e32 v60, v2
	v_mov_b32_e32 v57, v2
	s_waitcnt vmcnt(47)
	global_store_dword v[55:56], v49, off
	s_waitcnt vmcnt(45)
	global_store_dword v[58:59], v47, off
	v_or_b32_e32 v59, 0x1400, v1
	v_add_co_u32 v61, vcc_lo, s2, v61
	v_or_b32_e32 v56, 0x1500, v1
	v_add_co_ci_u32_e64 v62, null, s3, v62, vcc_lo
	v_mov_b32_e32 v70, v2
	v_or_b32_e32 v69, 0x1600, v1
	v_lshlrev_b64 v[58:59], 2, v[59:60]
	global_store_dword v[63:64], v50, off
	v_mov_b32_e32 v50, v2
	v_or_b32_e32 v49, 0x1700, v1
	v_lshlrev_b64 v[56:57], 2, v[56:57]
	v_mov_b32_e32 v63, v2
	s_waitcnt vmcnt(44)
	global_store_dword v[61:62], v46, off
	v_or_b32_e32 v62, 0x1800, v1
	v_lshlrev_b64 v[60:61], 2, v[69:70]
	v_mov_b32_e32 v65, v2
	v_or_b32_e32 v64, 0x1900, v1
	v_lshlrev_b64 v[49:50], 2, v[49:50]
	v_add_co_u32 v58, vcc_lo, s2, v58
	v_mov_b32_e32 v52, v2
	global_store_dword v[53:54], v48, off
	v_mov_b32_e32 v48, v2
	v_or_b32_e32 v51, 0x1a00, v1
	v_or_b32_e32 v47, 0x1e00, v1
	v_lshlrev_b64 v[62:63], 2, v[62:63]
	v_add_co_ci_u32_e64 v59, null, s3, v59, vcc_lo
	v_add_co_u32 v56, vcc_lo, s2, v56
	v_mov_b32_e32 v72, v2
	v_or_b32_e32 v71, 0x1b00, v1
	v_lshlrev_b64 v[64:65], 2, v[64:65]
	v_add_co_ci_u32_e64 v57, null, s3, v57, vcc_lo
	v_add_co_u32 v60, vcc_lo, s2, v60
	v_or_b32_e32 v66, 0x1c00, v1
	v_lshlrev_b64 v[51:52], 2, v[51:52]
	v_lshlrev_b64 v[46:47], 2, v[47:48]
	v_add_co_ci_u32_e64 v61, null, s3, v61, vcc_lo
	v_add_co_u32 v48, vcc_lo, s2, v49
	v_mov_b32_e32 v55, v2
	v_or_b32_e32 v54, 0x1d00, v1
	v_lshlrev_b64 v[68:69], 2, v[71:72]
	v_add_co_ci_u32_e64 v49, null, s3, v50, vcc_lo
	v_add_co_u32 v62, vcc_lo, s2, v62
	v_lshlrev_b64 v[66:67], 2, v[66:67]
	v_add_co_ci_u32_e64 v63, null, s3, v63, vcc_lo
	v_add_co_u32 v64, vcc_lo, s2, v64
	v_mov_b32_e32 v74, v2
	v_or_b32_e32 v73, 0x1f00, v1
	v_or_b32_e32 v75, 0x2000, v1
	v_lshlrev_b64 v[54:55], 2, v[54:55]
	v_add_co_ci_u32_e64 v65, null, s3, v65, vcc_lo
	v_add_co_u32 v50, vcc_lo, s2, v51
	v_add_co_ci_u32_e64 v51, null, s3, v52, vcc_lo
	v_add_co_u32 v68, vcc_lo, s2, v68
	v_mov_b32_e32 v53, v2
	v_or_b32_e32 v52, 0x2100, v1
	v_lshlrev_b64 v[70:71], 2, v[73:74]
	v_add_co_ci_u32_e64 v69, null, s3, v69, vcc_lo
	v_add_co_u32 v66, vcc_lo, s2, v66
	v_lshlrev_b64 v[72:73], 2, v[75:76]
	v_mov_b32_e32 v75, v2
	v_or_b32_e32 v74, 0x2200, v1
	v_add_co_ci_u32_e64 v67, null, s3, v67, vcc_lo
	v_add_co_u32 v54, vcc_lo, s2, v54
	v_add_co_ci_u32_e64 v55, null, s3, v55, vcc_lo
	v_add_co_u32 v46, vcc_lo, s2, v46
	v_lshlrev_b64 v[52:53], 2, v[52:53]
	v_add_co_ci_u32_e64 v47, null, s3, v47, vcc_lo
	v_add_co_u32 v70, vcc_lo, s2, v70
	v_lshlrev_b64 v[74:75], 2, v[74:75]
	v_add_co_ci_u32_e64 v71, null, s3, v71, vcc_lo
	v_add_co_u32 v72, vcc_lo, s2, v72
	v_add_co_ci_u32_e64 v73, null, s3, v73, vcc_lo
	s_waitcnt vmcnt(43)
	global_store_dword v[58:59], v31, off
	s_waitcnt vmcnt(42)
	global_store_dword v[56:57], v32, off
	;; [unrolled: 2-line block ×12, first 2 shown]
	v_add_co_u32 v31, vcc_lo, s2, v52
	v_add_co_ci_u32_e64 v32, null, s3, v53, vcc_lo
	v_add_co_u32 v33, vcc_lo, s2, v74
	v_add_co_ci_u32_e64 v34, null, s3, v75, vcc_lo
	v_or_b32_e32 v35, 0x2300, v1
	v_mov_b32_e32 v36, v2
	v_or_b32_e32 v37, 0x2400, v1
	v_mov_b32_e32 v38, v2
	s_waitcnt vmcnt(31)
	global_store_dword v[72:73], v29, off
	s_waitcnt vmcnt(30)
	global_store_dword v[31:32], v30, off
	;; [unrolled: 2-line block ×3, first 2 shown]
	v_or_b32_e32 v33, 0x2500, v1
	v_mov_b32_e32 v34, v2
	v_lshlrev_b64 v[29:30], 2, v[35:36]
	v_lshlrev_b64 v[31:32], 2, v[37:38]
	v_or_b32_e32 v35, 0x2600, v1
	v_or_b32_e32 v37, 0x2700, v1
	v_lshlrev_b64 v[33:34], 2, v[33:34]
	v_add_co_u32 v29, vcc_lo, s2, v29
	v_add_co_ci_u32_e64 v30, null, s3, v30, vcc_lo
	v_add_co_u32 v31, vcc_lo, s2, v31
	v_add_co_ci_u32_e64 v32, null, s3, v32, vcc_lo
	;; [unrolled: 2-line block ×3, first 2 shown]
	s_waitcnt vmcnt(28)
	global_store_dword v[29:30], v43, off
	s_waitcnt vmcnt(27)
	global_store_dword v[31:32], v44, off
	v_lshlrev_b64 v[29:30], 2, v[35:36]
	v_lshlrev_b64 v[31:32], 2, v[37:38]
	s_waitcnt vmcnt(26)
	global_store_dword v[33:34], v45, off
	v_or_b32_e32 v33, 0x2800, v1
	v_mov_b32_e32 v34, v2
	v_or_b32_e32 v35, 0x2900, v1
	v_add_co_u32 v29, vcc_lo, s2, v29
	v_add_co_ci_u32_e64 v30, null, s3, v30, vcc_lo
	v_lshlrev_b64 v[33:34], 2, v[33:34]
	v_add_co_u32 v31, vcc_lo, s2, v31
	v_add_co_ci_u32_e64 v32, null, s3, v32, vcc_lo
	v_or_b32_e32 v37, 0x2a00, v1
	v_add_co_u32 v33, vcc_lo, s2, v33
	s_waitcnt vmcnt(25)
	global_store_dword v[29:30], v27, off
	s_waitcnt vmcnt(24)
	global_store_dword v[31:32], v28, off
	v_or_b32_e32 v30, 0x2b00, v1
	v_mov_b32_e32 v31, v2
	v_lshlrev_b64 v[26:27], 2, v[35:36]
	v_add_co_ci_u32_e64 v34, null, s3, v34, vcc_lo
	v_lshlrev_b64 v[28:29], 2, v[37:38]
	v_lshlrev_b64 v[30:31], 2, v[30:31]
	v_mov_b32_e32 v32, v2
	s_waitcnt vmcnt(23)
	global_store_dword v[33:34], v25, off
	v_add_co_u32 v25, vcc_lo, s2, v26
	v_add_co_ci_u32_e64 v26, null, s3, v27, vcc_lo
	v_add_co_u32 v27, vcc_lo, s2, v28
	v_add_co_ci_u32_e64 v28, null, s3, v29, vcc_lo
	;; [unrolled: 2-line block ×3, first 2 shown]
	v_or_b32_e32 v31, 0x2c00, v1
	v_or_b32_e32 v33, 0x2d00, v1
	v_mov_b32_e32 v34, v2
	s_waitcnt vmcnt(22)
	global_store_dword v[25:26], v23, off
	s_waitcnt vmcnt(21)
	global_store_dword v[27:28], v24, off
	v_or_b32_e32 v27, 0x2e00, v1
	v_mov_b32_e32 v28, v2
	v_lshlrev_b64 v[23:24], 2, v[31:32]
	v_lshlrev_b64 v[25:26], 2, v[33:34]
	s_waitcnt vmcnt(20)
	global_store_dword v[29:30], v22, off
	v_mov_b32_e32 v29, v2
	v_lshlrev_b64 v[27:28], 2, v[27:28]
	v_or_b32_e32 v30, 0x3000, v1
	v_add_co_u32 v22, vcc_lo, s2, v23
	v_add_co_ci_u32_e64 v23, null, s3, v24, vcc_lo
	v_add_co_u32 v24, vcc_lo, s2, v25
	v_add_co_ci_u32_e64 v25, null, s3, v26, vcc_lo
	v_add_co_u32 v26, vcc_lo, s2, v27
	v_add_co_ci_u32_e64 v27, null, s3, v28, vcc_lo
	v_or_b32_e32 v28, 0x2f00, v1
	v_mov_b32_e32 v31, v2
	s_waitcnt vmcnt(19)
	global_store_dword v[22:23], v20, off
	s_waitcnt vmcnt(18)
	global_store_dword v[24:25], v21, off
	v_or_b32_e32 v24, 0x3100, v1
	v_mov_b32_e32 v25, v2
	v_lshlrev_b64 v[20:21], 2, v[28:29]
	v_lshlrev_b64 v[22:23], 2, v[30:31]
	s_waitcnt vmcnt(17)
	global_store_dword v[26:27], v19, off
	v_mov_b32_e32 v26, v2
	v_lshlrev_b64 v[24:25], 2, v[24:25]
	v_or_b32_e32 v27, 0x3300, v1
	v_add_co_u32 v19, vcc_lo, s2, v20
	v_add_co_ci_u32_e64 v20, null, s3, v21, vcc_lo
	v_add_co_u32 v21, vcc_lo, s2, v22
	v_add_co_ci_u32_e64 v22, null, s3, v23, vcc_lo
	v_add_co_u32 v23, vcc_lo, s2, v24
	v_add_co_ci_u32_e64 v24, null, s3, v25, vcc_lo
	;; [unrolled: 21-line block ×5, first 2 shown]
	v_or_b32_e32 v16, 0x3b00, v1
	v_mov_b32_e32 v19, v2
	s_waitcnt vmcnt(7)
	global_store_dword v[10:11], v8, off
	s_waitcnt vmcnt(6)
	global_store_dword v[12:13], v9, off
	v_or_b32_e32 v12, 0x3d00, v1
	v_mov_b32_e32 v13, v2
	v_lshlrev_b64 v[8:9], 2, v[16:17]
	s_waitcnt vmcnt(5)
	global_store_dword v[14:15], v7, off
	v_or_b32_e32 v14, 0x3e00, v1
	v_mov_b32_e32 v15, v2
	v_lshlrev_b64 v[10:11], 2, v[18:19]
	v_or_b32_e32 v1, 0x3f00, v1
	v_lshlrev_b64 v[12:13], 2, v[12:13]
	v_add_co_u32 v7, vcc_lo, s2, v8
	v_lshlrev_b64 v[14:15], 2, v[14:15]
	v_add_co_ci_u32_e64 v8, null, s3, v9, vcc_lo
	v_add_co_u32 v9, vcc_lo, s2, v10
	v_lshlrev_b64 v[1:2], 2, v[1:2]
	v_add_co_ci_u32_e64 v10, null, s3, v11, vcc_lo
	v_add_co_u32 v11, vcc_lo, s2, v12
	v_add_co_ci_u32_e64 v12, null, s3, v13, vcc_lo
	v_add_co_u32 v13, vcc_lo, s2, v14
	v_add_co_ci_u32_e64 v14, null, s3, v15, vcc_lo
	v_add_co_u32 v1, vcc_lo, s2, v1
	v_add_co_ci_u32_e64 v2, null, s3, v2, vcc_lo
	s_waitcnt vmcnt(4)
	global_store_dword v[7:8], v3, off
	s_waitcnt vmcnt(3)
	global_store_dword v[9:10], v4, off
	;; [unrolled: 2-line block ×5, first 2 shown]
	s_endpgm
	.section	.rodata,"a",@progbits
	.p2align	6, 0x0
	.amdhsa_kernel _Z16warp_load_kernelILj256ELj64ELj32ELN6hipcub17WarpLoadAlgorithmE1EiEvPT3_S3_
		.amdhsa_group_segment_fixed_size 0
		.amdhsa_private_segment_fixed_size 0
		.amdhsa_kernarg_size 16
		.amdhsa_user_sgpr_count 6
		.amdhsa_user_sgpr_private_segment_buffer 1
		.amdhsa_user_sgpr_dispatch_ptr 0
		.amdhsa_user_sgpr_queue_ptr 0
		.amdhsa_user_sgpr_kernarg_segment_ptr 1
		.amdhsa_user_sgpr_dispatch_id 0
		.amdhsa_user_sgpr_flat_scratch_init 0
		.amdhsa_user_sgpr_private_segment_size 0
		.amdhsa_wavefront_size32 1
		.amdhsa_uses_dynamic_stack 0
		.amdhsa_system_sgpr_private_segment_wavefront_offset 0
		.amdhsa_system_sgpr_workgroup_id_x 1
		.amdhsa_system_sgpr_workgroup_id_y 0
		.amdhsa_system_sgpr_workgroup_id_z 0
		.amdhsa_system_sgpr_workgroup_info 0
		.amdhsa_system_vgpr_workitem_id 0
		.amdhsa_next_free_vgpr 77
		.amdhsa_next_free_sgpr 7
		.amdhsa_reserve_vcc 1
		.amdhsa_reserve_flat_scratch 0
		.amdhsa_float_round_mode_32 0
		.amdhsa_float_round_mode_16_64 0
		.amdhsa_float_denorm_mode_32 3
		.amdhsa_float_denorm_mode_16_64 3
		.amdhsa_dx10_clamp 1
		.amdhsa_ieee_mode 1
		.amdhsa_fp16_overflow 0
		.amdhsa_workgroup_processor_mode 1
		.amdhsa_memory_ordered 1
		.amdhsa_forward_progress 1
		.amdhsa_shared_vgpr_count 0
		.amdhsa_exception_fp_ieee_invalid_op 0
		.amdhsa_exception_fp_denorm_src 0
		.amdhsa_exception_fp_ieee_div_zero 0
		.amdhsa_exception_fp_ieee_overflow 0
		.amdhsa_exception_fp_ieee_underflow 0
		.amdhsa_exception_fp_ieee_inexact 0
		.amdhsa_exception_int_div_zero 0
	.end_amdhsa_kernel
	.section	.text._Z16warp_load_kernelILj256ELj64ELj32ELN6hipcub17WarpLoadAlgorithmE1EiEvPT3_S3_,"axG",@progbits,_Z16warp_load_kernelILj256ELj64ELj32ELN6hipcub17WarpLoadAlgorithmE1EiEvPT3_S3_,comdat
.Lfunc_end17:
	.size	_Z16warp_load_kernelILj256ELj64ELj32ELN6hipcub17WarpLoadAlgorithmE1EiEvPT3_S3_, .Lfunc_end17-_Z16warp_load_kernelILj256ELj64ELj32ELN6hipcub17WarpLoadAlgorithmE1EiEvPT3_S3_
                                        ; -- End function
	.set _Z16warp_load_kernelILj256ELj64ELj32ELN6hipcub17WarpLoadAlgorithmE1EiEvPT3_S3_.num_vgpr, 77
	.set _Z16warp_load_kernelILj256ELj64ELj32ELN6hipcub17WarpLoadAlgorithmE1EiEvPT3_S3_.num_agpr, 0
	.set _Z16warp_load_kernelILj256ELj64ELj32ELN6hipcub17WarpLoadAlgorithmE1EiEvPT3_S3_.numbered_sgpr, 7
	.set _Z16warp_load_kernelILj256ELj64ELj32ELN6hipcub17WarpLoadAlgorithmE1EiEvPT3_S3_.num_named_barrier, 0
	.set _Z16warp_load_kernelILj256ELj64ELj32ELN6hipcub17WarpLoadAlgorithmE1EiEvPT3_S3_.private_seg_size, 0
	.set _Z16warp_load_kernelILj256ELj64ELj32ELN6hipcub17WarpLoadAlgorithmE1EiEvPT3_S3_.uses_vcc, 1
	.set _Z16warp_load_kernelILj256ELj64ELj32ELN6hipcub17WarpLoadAlgorithmE1EiEvPT3_S3_.uses_flat_scratch, 0
	.set _Z16warp_load_kernelILj256ELj64ELj32ELN6hipcub17WarpLoadAlgorithmE1EiEvPT3_S3_.has_dyn_sized_stack, 0
	.set _Z16warp_load_kernelILj256ELj64ELj32ELN6hipcub17WarpLoadAlgorithmE1EiEvPT3_S3_.has_recursion, 0
	.set _Z16warp_load_kernelILj256ELj64ELj32ELN6hipcub17WarpLoadAlgorithmE1EiEvPT3_S3_.has_indirect_call, 0
	.section	.AMDGPU.csdata,"",@progbits
; Kernel info:
; codeLenInByte = 3676
; TotalNumSgprs: 9
; NumVgprs: 77
; ScratchSize: 0
; MemoryBound: 0
; FloatMode: 240
; IeeeMode: 1
; LDSByteSize: 0 bytes/workgroup (compile time only)
; SGPRBlocks: 0
; VGPRBlocks: 9
; NumSGPRsForWavesPerEU: 9
; NumVGPRsForWavesPerEU: 77
; Occupancy: 12
; WaveLimiterHint : 1
; COMPUTE_PGM_RSRC2:SCRATCH_EN: 0
; COMPUTE_PGM_RSRC2:USER_SGPR: 6
; COMPUTE_PGM_RSRC2:TRAP_HANDLER: 0
; COMPUTE_PGM_RSRC2:TGID_X_EN: 1
; COMPUTE_PGM_RSRC2:TGID_Y_EN: 0
; COMPUTE_PGM_RSRC2:TGID_Z_EN: 0
; COMPUTE_PGM_RSRC2:TIDIG_COMP_CNT: 0
	.section	.text._Z16warp_load_kernelILj256ELj64ELj32ELN6hipcub17WarpLoadAlgorithmE2EiEvPT3_S3_,"axG",@progbits,_Z16warp_load_kernelILj256ELj64ELj32ELN6hipcub17WarpLoadAlgorithmE2EiEvPT3_S3_,comdat
	.protected	_Z16warp_load_kernelILj256ELj64ELj32ELN6hipcub17WarpLoadAlgorithmE2EiEvPT3_S3_ ; -- Begin function _Z16warp_load_kernelILj256ELj64ELj32ELN6hipcub17WarpLoadAlgorithmE2EiEvPT3_S3_
	.globl	_Z16warp_load_kernelILj256ELj64ELj32ELN6hipcub17WarpLoadAlgorithmE2EiEvPT3_S3_
	.p2align	8
	.type	_Z16warp_load_kernelILj256ELj64ELj32ELN6hipcub17WarpLoadAlgorithmE2EiEvPT3_S3_,@function
_Z16warp_load_kernelILj256ELj64ELj32ELN6hipcub17WarpLoadAlgorithmE2EiEvPT3_S3_: ; @_Z16warp_load_kernelILj256ELj64ELj32ELN6hipcub17WarpLoadAlgorithmE2EiEvPT3_S3_
; %bb.0:
	s_load_dwordx4 s[0:3], s[4:5], 0x0
	v_lshlrev_b32_e32 v1, 6, v0
	s_lshl_b32 s4, s6, 14
	v_mov_b32_e32 v49, 0
	v_mbcnt_lo_u32_b32 v3, -1, 0
	v_and_or_b32 v48, 0x3800, v1, s4
	v_mov_b32_e32 v67, v49
	v_lshlrev_b32_e32 v3, 8, v3
	v_mov_b32_e32 v69, v49
	v_lshlrev_b64 v[1:2], 2, v[48:49]
	v_or_b32_e32 v48, s4, v0
	v_mov_b32_e32 v76, v49
	v_mov_b32_e32 v78, v49
	v_or_b32_e32 v0, 0x200, v48
	v_lshlrev_b64 v[4:5], 2, v[48:49]
	v_or_b32_e32 v66, 0x400, v48
	s_waitcnt lgkmcnt(0)
	v_add_co_u32 v1, vcc_lo, s0, v1
	v_add_co_ci_u32_e64 v2, null, s1, v2, vcc_lo
	v_or_b32_e32 v68, 0x500, v48
	v_add_co_u32 v12, vcc_lo, v1, v3
	v_add_co_ci_u32_e64 v13, null, 0, v2, vcc_lo
	v_mov_b32_e32 v1, v49
	v_mov_b32_e32 v3, v49
	v_or_b32_e32 v2, 0x300, v48
	s_clause 0xb
	global_load_dwordx4 v[50:53], v[12:13], off
	global_load_dwordx4 v[54:57], v[12:13], off offset:16
	global_load_dwordx4 v[58:61], v[12:13], off offset:32
	;; [unrolled: 1-line block ×11, first 2 shown]
	v_lshlrev_b64 v[0:1], 2, v[0:1]
	v_lshlrev_b64 v[2:3], 2, v[2:3]
	v_add_co_u32 v70, vcc_lo, s2, v4
	v_add_co_ci_u32_e64 v71, null, s3, v5, vcc_lo
	v_add_co_u32 v72, vcc_lo, s2, v0
	v_add_co_ci_u32_e64 v73, null, s3, v1, vcc_lo
	;; [unrolled: 2-line block ×3, first 2 shown]
	s_clause 0x3
	global_load_dwordx4 v[0:3], v[12:13], off offset:240
	global_load_dwordx4 v[4:7], v[12:13], off offset:224
	;; [unrolled: 1-line block ×4, first 2 shown]
	v_lshlrev_b64 v[66:67], 2, v[66:67]
	v_lshlrev_b64 v[68:69], 2, v[68:69]
	v_or_b32_e32 v77, 0x2700, v48
	s_waitcnt vmcnt(15)
	global_store_dword v[70:71], v50, off
	global_store_dword v[70:71], v51, off offset:1024
	v_mov_b32_e32 v51, v49
	v_or_b32_e32 v50, 0x600, v48
	v_mov_b32_e32 v71, v49
	v_or_b32_e32 v70, 0x700, v48
	v_add_co_u32 v66, vcc_lo, s2, v66
	v_lshlrev_b64 v[50:51], 2, v[50:51]
	v_add_co_ci_u32_e64 v67, null, s3, v67, vcc_lo
	v_lshlrev_b64 v[70:71], 2, v[70:71]
	v_add_co_u32 v68, vcc_lo, s2, v68
	v_add_co_ci_u32_e64 v69, null, s3, v69, vcc_lo
	v_add_co_u32 v50, vcc_lo, s2, v50
	v_add_co_ci_u32_e64 v51, null, s3, v51, vcc_lo
	;; [unrolled: 2-line block ×3, first 2 shown]
	global_store_dword v[72:73], v52, off
	v_mov_b32_e32 v52, v49
	s_waitcnt vmcnt(14)
	global_store_dword v[50:51], v56, off
	v_or_b32_e32 v51, 0x800, v48
	v_mov_b32_e32 v72, v49
	global_store_dword v[70:71], v57, off
	v_or_b32_e32 v71, 0x900, v48
	global_store_dword v[74:75], v53, off
	v_mov_b32_e32 v74, v49
	v_or_b32_e32 v73, 0xa00, v48
	v_lshlrev_b64 v[50:51], 2, v[51:52]
	global_store_dword v[66:67], v54, off
	v_mov_b32_e32 v54, v49
	v_or_b32_e32 v53, 0xb00, v48
	global_store_dword v[68:69], v55, off
	v_lshlrev_b64 v[68:69], 2, v[71:72]
	v_lshlrev_b64 v[70:71], 2, v[73:74]
	v_add_co_u32 v50, vcc_lo, s2, v50
	v_lshlrev_b64 v[53:54], 2, v[53:54]
	v_add_co_ci_u32_e64 v51, null, s3, v51, vcc_lo
	v_add_co_u32 v68, vcc_lo, s2, v68
	v_add_co_ci_u32_e64 v69, null, s3, v69, vcc_lo
	v_add_co_u32 v70, vcc_lo, s2, v70
	;; [unrolled: 2-line block ×3, first 2 shown]
	v_mov_b32_e32 v55, v49
	v_add_co_ci_u32_e64 v73, null, s3, v54, vcc_lo
	v_or_b32_e32 v54, 0xc00, v48
	v_mov_b32_e32 v67, v49
	v_or_b32_e32 v66, 0xd00, v48
	v_mov_b32_e32 v57, v49
	v_or_b32_e32 v56, 0xe00, v48
	v_lshlrev_b64 v[54:55], 2, v[54:55]
	s_waitcnt vmcnt(13)
	global_store_dword v[50:51], v58, off
	v_lshlrev_b64 v[66:67], 2, v[66:67]
	v_or_b32_e32 v51, 0xf00, v48
	v_lshlrev_b64 v[56:57], 2, v[56:57]
	v_mov_b32_e32 v53, v49
	v_add_co_u32 v54, vcc_lo, s2, v54
	v_add_co_ci_u32_e64 v55, null, s3, v55, vcc_lo
	v_add_co_u32 v66, vcc_lo, s2, v66
	v_add_co_ci_u32_e64 v67, null, s3, v67, vcc_lo
	v_add_co_u32 v56, vcc_lo, s2, v56
	v_lshlrev_b64 v[50:51], 2, v[51:52]
	v_add_co_ci_u32_e64 v57, null, s3, v57, vcc_lo
	v_or_b32_e32 v52, 0x1000, v48
	v_mov_b32_e32 v58, v49
	global_store_dword v[68:69], v59, off
	v_add_co_u32 v50, vcc_lo, s2, v50
	s_waitcnt vmcnt(12)
	global_store_dword v[56:57], v64, off
	v_or_b32_e32 v57, 0x1100, v48
	v_mov_b32_e32 v68, v49
	v_add_co_ci_u32_e64 v51, null, s3, v51, vcc_lo
	global_store_dword v[66:67], v63, off
	v_or_b32_e32 v67, 0x1200, v48
	v_lshlrev_b64 v[52:53], 2, v[52:53]
	v_lshlrev_b64 v[56:57], 2, v[57:58]
	global_store_dword v[50:51], v65, off
	global_store_dword v[70:71], v60, off
	v_lshlrev_b64 v[65:66], 2, v[67:68]
	v_mov_b32_e32 v60, v49
	v_or_b32_e32 v59, 0x1300, v48
	v_add_co_u32 v52, vcc_lo, s2, v52
	v_add_co_ci_u32_e64 v53, null, s3, v53, vcc_lo
	v_add_co_u32 v56, vcc_lo, s2, v56
	global_store_dword v[72:73], v61, off
	v_mov_b32_e32 v61, v49
	v_lshlrev_b64 v[58:59], 2, v[59:60]
	v_add_co_ci_u32_e64 v57, null, s3, v57, vcc_lo
	v_add_co_u32 v65, vcc_lo, s2, v65
	v_or_b32_e32 v60, 0x1400, v48
	v_mov_b32_e32 v69, v49
	v_add_co_ci_u32_e64 v66, null, s3, v66, vcc_lo
	v_or_b32_e32 v68, 0x1500, v48
	v_lshlrev_b64 v[60:61], 2, v[60:61]
	v_mov_b32_e32 v71, v49
	s_waitcnt vmcnt(11)
	global_store_dword v[65:66], v46, off
	v_or_b32_e32 v70, 0x1600, v48
	v_lshlrev_b64 v[65:66], 2, v[68:69]
	global_store_dword v[54:55], v62, off
	v_mov_b32_e32 v54, v49
	v_add_co_u32 v58, vcc_lo, s2, v58
	global_store_dword v[52:53], v44, off
	v_or_b32_e32 v53, 0x1700, v48
	v_add_co_ci_u32_e64 v59, null, s3, v59, vcc_lo
	v_add_co_u32 v60, vcc_lo, s2, v60
	v_lshlrev_b64 v[68:69], 2, v[70:71]
	v_add_co_ci_u32_e64 v61, null, s3, v61, vcc_lo
	v_add_co_u32 v65, vcc_lo, s2, v65
	v_lshlrev_b64 v[52:53], 2, v[53:54]
	v_add_co_ci_u32_e64 v66, null, s3, v66, vcc_lo
	v_mov_b32_e32 v55, v49
	v_or_b32_e32 v54, 0x1800, v48
	v_add_co_u32 v68, vcc_lo, s2, v68
	v_mov_b32_e32 v62, v49
	global_store_dword v[56:57], v45, off
	global_store_dword v[58:59], v47, off
	s_waitcnt vmcnt(10)
	global_store_dword v[60:61], v40, off
	global_store_dword v[65:66], v41, off
	v_or_b32_e32 v61, 0x1900, v48
	v_add_co_ci_u32_e64 v69, null, s3, v69, vcc_lo
	v_add_co_u32 v52, vcc_lo, s2, v52
	v_mov_b32_e32 v51, v49
	v_or_b32_e32 v50, 0x1a00, v48
	v_add_co_ci_u32_e64 v53, null, s3, v53, vcc_lo
	v_lshlrev_b64 v[54:55], 2, v[54:55]
	v_mov_b32_e32 v64, v49
	v_or_b32_e32 v63, 0x1b00, v48
	v_lshlrev_b64 v[60:61], 2, v[61:62]
	v_mov_b32_e32 v67, v49
	v_or_b32_e32 v66, 0x1c00, v48
	v_lshlrev_b64 v[50:51], 2, v[50:51]
	v_mov_b32_e32 v44, v49
	global_store_dword v[52:53], v43, off
	v_or_b32_e32 v43, 0x1d00, v48
	v_lshlrev_b64 v[62:63], 2, v[63:64]
	v_add_co_u32 v54, vcc_lo, s2, v54
	v_mov_b32_e32 v57, v49
	v_or_b32_e32 v56, 0x1e00, v48
	v_lshlrev_b64 v[64:65], 2, v[66:67]
	v_add_co_ci_u32_e64 v55, null, s3, v55, vcc_lo
	v_add_co_u32 v60, vcc_lo, s2, v60
	v_mov_b32_e32 v46, v49
	v_or_b32_e32 v45, 0x1f00, v48
	global_store_dword v[68:69], v42, off
	v_lshlrev_b64 v[42:43], 2, v[43:44]
	v_add_co_ci_u32_e64 v61, null, s3, v61, vcc_lo
	v_add_co_u32 v50, vcc_lo, s2, v50
	v_mov_b32_e32 v59, v49
	v_or_b32_e32 v58, 0x2000, v48
	v_lshlrev_b64 v[56:57], 2, v[56:57]
	v_add_co_ci_u32_e64 v51, null, s3, v51, vcc_lo
	v_add_co_u32 v62, vcc_lo, s2, v62
	v_mov_b32_e32 v72, v49
	v_or_b32_e32 v71, 0x2100, v48
	;; [unrolled: 5-line block ×3, first 2 shown]
	v_lshlrev_b64 v[46:47], 2, v[58:59]
	v_add_co_ci_u32_e64 v65, null, s3, v65, vcc_lo
	v_add_co_u32 v42, vcc_lo, s2, v42
	v_or_b32_e32 v73, 0x2300, v48
	v_lshlrev_b64 v[58:59], 2, v[71:72]
	v_add_co_ci_u32_e64 v43, null, s3, v43, vcc_lo
	v_add_co_u32 v56, vcc_lo, s2, v56
	v_mov_b32_e32 v41, v49
	v_or_b32_e32 v40, 0x2400, v48
	v_lshlrev_b64 v[66:67], 2, v[69:70]
	v_add_co_ci_u32_e64 v57, null, s3, v57, vcc_lo
	v_add_co_u32 v44, vcc_lo, s2, v44
	v_or_b32_e32 v75, 0x2500, v48
	v_lshlrev_b64 v[68:69], 2, v[73:74]
	v_add_co_ci_u32_e64 v45, null, s3, v45, vcc_lo
	v_add_co_u32 v46, vcc_lo, s2, v46
	v_mov_b32_e32 v53, v49
	v_or_b32_e32 v52, 0x2600, v48
	v_lshlrev_b64 v[40:41], 2, v[40:41]
	v_add_co_ci_u32_e64 v47, null, s3, v47, vcc_lo
	v_add_co_u32 v58, vcc_lo, s2, v58
	v_lshlrev_b64 v[70:71], 2, v[75:76]
	v_add_co_ci_u32_e64 v59, null, s3, v59, vcc_lo
	v_add_co_u32 v66, vcc_lo, s2, v66
	v_add_co_ci_u32_e64 v67, null, s3, v67, vcc_lo
	v_add_co_u32 v68, vcc_lo, s2, v68
	v_mov_b32_e32 v75, v49
	v_or_b32_e32 v74, 0x2800, v48
	v_lshlrev_b64 v[52:53], 2, v[52:53]
	v_add_co_ci_u32_e64 v69, null, s3, v69, vcc_lo
	v_add_co_u32 v40, vcc_lo, s2, v40
	s_waitcnt vmcnt(9)
	global_store_dword v[54:55], v24, off
	v_mov_b32_e32 v55, v49
	v_or_b32_e32 v54, 0x2900, v48
	v_lshlrev_b64 v[72:73], 2, v[77:78]
	v_add_co_ci_u32_e64 v41, null, s3, v41, vcc_lo
	v_add_co_u32 v70, vcc_lo, s2, v70
	global_store_dword v[60:61], v25, off
	v_or_b32_e32 v24, 0x2a00, v48
	v_mov_b32_e32 v25, v49
	v_lshlrev_b64 v[74:75], 2, v[74:75]
	v_add_co_ci_u32_e64 v71, null, s3, v71, vcc_lo
	global_store_dword v[50:51], v26, off
	global_store_dword v[62:63], v27, off
	s_waitcnt vmcnt(8)
	global_store_dword v[64:65], v32, off
	global_store_dword v[42:43], v33, off
	;; [unrolled: 1-line block ×4, first 2 shown]
	s_waitcnt vmcnt(6)
	global_store_dword v[46:47], v36, off
	global_store_dword v[58:59], v37, off
	;; [unrolled: 1-line block ×6, first 2 shown]
	v_or_b32_e32 v28, 0x2b00, v48
	v_mov_b32_e32 v29, v49
	v_add_co_u32 v52, vcc_lo, s2, v52
	v_lshlrev_b64 v[26:27], 2, v[54:55]
	v_add_co_ci_u32_e64 v53, null, s3, v53, vcc_lo
	v_add_co_u32 v72, vcc_lo, s2, v72
	v_lshlrev_b64 v[24:25], 2, v[24:25]
	v_add_co_ci_u32_e64 v73, null, s3, v73, vcc_lo
	;; [unrolled: 3-line block ×3, first 2 shown]
	v_add_co_u32 v26, vcc_lo, s2, v26
	v_add_co_ci_u32_e64 v27, null, s3, v27, vcc_lo
	v_add_co_u32 v24, vcc_lo, s2, v24
	global_store_dword v[52:53], v30, off
	global_store_dword v[72:73], v31, off
	v_add_co_ci_u32_e64 v25, null, s3, v25, vcc_lo
	v_add_co_u32 v28, vcc_lo, s2, v28
	v_or_b32_e32 v30, 0x2c00, v48
	v_mov_b32_e32 v31, v49
	v_add_co_ci_u32_e64 v29, null, s3, v29, vcc_lo
	v_or_b32_e32 v32, 0x2d00, v48
	v_mov_b32_e32 v33, v49
	s_waitcnt vmcnt(4)
	global_store_dword v[74:75], v20, off
	global_store_dword v[26:27], v21, off
	;; [unrolled: 1-line block ×3, first 2 shown]
	v_lshlrev_b64 v[20:21], 2, v[30:31]
	global_store_dword v[28:29], v23, off
	v_lshlrev_b64 v[22:23], 2, v[32:33]
	v_or_b32_e32 v24, 0x2e00, v48
	v_mov_b32_e32 v25, v49
	v_or_b32_e32 v26, 0x2f00, v48
	v_add_co_u32 v20, vcc_lo, s2, v20
	v_add_co_ci_u32_e64 v21, null, s3, v21, vcc_lo
	v_add_co_u32 v22, vcc_lo, s2, v22
	v_add_co_ci_u32_e64 v23, null, s3, v23, vcc_lo
	v_mov_b32_e32 v27, v49
	v_lshlrev_b64 v[24:25], 2, v[24:25]
	v_or_b32_e32 v28, 0x3000, v48
	v_mov_b32_e32 v29, v49
	global_store_dword v[20:21], v16, off
	global_store_dword v[22:23], v17, off
	v_or_b32_e32 v22, 0x3100, v48
	v_mov_b32_e32 v23, v49
	v_lshlrev_b64 v[16:17], 2, v[26:27]
	v_lshlrev_b64 v[20:21], 2, v[28:29]
	v_add_co_u32 v24, vcc_lo, s2, v24
	v_lshlrev_b64 v[22:23], 2, v[22:23]
	v_add_co_ci_u32_e64 v25, null, s3, v25, vcc_lo
	v_add_co_u32 v16, vcc_lo, s2, v16
	v_add_co_ci_u32_e64 v17, null, s3, v17, vcc_lo
	v_add_co_u32 v20, vcc_lo, s2, v20
	global_store_dword v[24:25], v18, off
	v_add_co_ci_u32_e64 v21, null, s3, v21, vcc_lo
	v_add_co_u32 v22, vcc_lo, s2, v22
	v_or_b32_e32 v24, 0x3200, v48
	v_mov_b32_e32 v25, v49
	v_add_co_ci_u32_e64 v23, null, s3, v23, vcc_lo
	v_or_b32_e32 v26, 0x3300, v48
	global_store_dword v[16:17], v19, off
	s_waitcnt vmcnt(0)
	global_store_dword v[20:21], v12, off
	v_lshlrev_b64 v[16:17], 2, v[24:25]
	global_store_dword v[22:23], v13, off
	v_or_b32_e32 v18, 0x3400, v48
	v_lshlrev_b64 v[12:13], 2, v[26:27]
	v_mov_b32_e32 v19, v49
	v_or_b32_e32 v20, 0x3500, v48
	v_add_co_u32 v16, vcc_lo, s2, v16
	v_add_co_ci_u32_e64 v17, null, s3, v17, vcc_lo
	v_add_co_u32 v12, vcc_lo, s2, v12
	v_add_co_ci_u32_e64 v13, null, s3, v13, vcc_lo
	v_mov_b32_e32 v21, v49
	v_lshlrev_b64 v[18:19], 2, v[18:19]
	v_or_b32_e32 v22, 0x3600, v48
	v_mov_b32_e32 v23, v49
	global_store_dword v[16:17], v14, off
	global_store_dword v[12:13], v15, off
	v_or_b32_e32 v16, 0x3700, v48
	v_mov_b32_e32 v17, v49
	v_lshlrev_b64 v[12:13], 2, v[20:21]
	v_lshlrev_b64 v[14:15], 2, v[22:23]
	v_add_co_u32 v18, vcc_lo, s2, v18
	v_lshlrev_b64 v[16:17], 2, v[16:17]
	v_add_co_ci_u32_e64 v19, null, s3, v19, vcc_lo
	v_add_co_u32 v12, vcc_lo, s2, v12
	v_add_co_ci_u32_e64 v13, null, s3, v13, vcc_lo
	v_add_co_u32 v14, vcc_lo, s2, v14
	global_store_dword v[18:19], v8, off
	v_add_co_ci_u32_e64 v15, null, s3, v15, vcc_lo
	v_add_co_u32 v16, vcc_lo, s2, v16
	v_or_b32_e32 v18, 0x3800, v48
	v_mov_b32_e32 v19, v49
	v_add_co_ci_u32_e64 v17, null, s3, v17, vcc_lo
	v_or_b32_e32 v20, 0x3900, v48
	global_store_dword v[12:13], v9, off
	global_store_dword v[14:15], v10, off
	v_or_b32_e32 v12, 0x3a00, v48
	v_mov_b32_e32 v13, v49
	v_lshlrev_b64 v[8:9], 2, v[18:19]
	global_store_dword v[16:17], v11, off
	v_lshlrev_b64 v[10:11], 2, v[20:21]
	v_or_b32_e32 v14, 0x3b00, v48
	v_lshlrev_b64 v[12:13], 2, v[12:13]
	v_mov_b32_e32 v15, v49
	v_add_co_u32 v8, vcc_lo, s2, v8
	v_add_co_ci_u32_e64 v9, null, s3, v9, vcc_lo
	v_add_co_u32 v10, vcc_lo, s2, v10
	v_add_co_ci_u32_e64 v11, null, s3, v11, vcc_lo
	;; [unrolled: 2-line block ×3, first 2 shown]
	v_or_b32_e32 v16, 0x3c00, v48
	v_mov_b32_e32 v17, v49
	global_store_dword v[8:9], v4, off
	global_store_dword v[10:11], v5, off
	v_or_b32_e32 v10, 0x3d00, v48
	v_mov_b32_e32 v11, v49
	v_lshlrev_b64 v[4:5], 2, v[14:15]
	global_store_dword v[12:13], v6, off
	v_or_b32_e32 v12, 0x3e00, v48
	v_mov_b32_e32 v13, v49
	v_lshlrev_b64 v[8:9], 2, v[16:17]
	v_or_b32_e32 v48, 0x3f00, v48
	v_lshlrev_b64 v[10:11], 2, v[10:11]
	v_add_co_u32 v4, vcc_lo, s2, v4
	v_lshlrev_b64 v[12:13], 2, v[12:13]
	v_add_co_ci_u32_e64 v5, null, s3, v5, vcc_lo
	v_add_co_u32 v8, vcc_lo, s2, v8
	v_lshlrev_b64 v[14:15], 2, v[48:49]
	v_add_co_ci_u32_e64 v9, null, s3, v9, vcc_lo
	v_add_co_u32 v10, vcc_lo, s2, v10
	v_add_co_ci_u32_e64 v11, null, s3, v11, vcc_lo
	v_add_co_u32 v12, vcc_lo, s2, v12
	;; [unrolled: 2-line block ×3, first 2 shown]
	v_add_co_ci_u32_e64 v15, null, s3, v15, vcc_lo
	global_store_dword v[4:5], v7, off
	global_store_dword v[8:9], v0, off
	;; [unrolled: 1-line block ×5, first 2 shown]
	s_endpgm
	.section	.rodata,"a",@progbits
	.p2align	6, 0x0
	.amdhsa_kernel _Z16warp_load_kernelILj256ELj64ELj32ELN6hipcub17WarpLoadAlgorithmE2EiEvPT3_S3_
		.amdhsa_group_segment_fixed_size 0
		.amdhsa_private_segment_fixed_size 0
		.amdhsa_kernarg_size 16
		.amdhsa_user_sgpr_count 6
		.amdhsa_user_sgpr_private_segment_buffer 1
		.amdhsa_user_sgpr_dispatch_ptr 0
		.amdhsa_user_sgpr_queue_ptr 0
		.amdhsa_user_sgpr_kernarg_segment_ptr 1
		.amdhsa_user_sgpr_dispatch_id 0
		.amdhsa_user_sgpr_flat_scratch_init 0
		.amdhsa_user_sgpr_private_segment_size 0
		.amdhsa_wavefront_size32 1
		.amdhsa_uses_dynamic_stack 0
		.amdhsa_system_sgpr_private_segment_wavefront_offset 0
		.amdhsa_system_sgpr_workgroup_id_x 1
		.amdhsa_system_sgpr_workgroup_id_y 0
		.amdhsa_system_sgpr_workgroup_id_z 0
		.amdhsa_system_sgpr_workgroup_info 0
		.amdhsa_system_vgpr_workitem_id 0
		.amdhsa_next_free_vgpr 79
		.amdhsa_next_free_sgpr 7
		.amdhsa_reserve_vcc 1
		.amdhsa_reserve_flat_scratch 0
		.amdhsa_float_round_mode_32 0
		.amdhsa_float_round_mode_16_64 0
		.amdhsa_float_denorm_mode_32 3
		.amdhsa_float_denorm_mode_16_64 3
		.amdhsa_dx10_clamp 1
		.amdhsa_ieee_mode 1
		.amdhsa_fp16_overflow 0
		.amdhsa_workgroup_processor_mode 1
		.amdhsa_memory_ordered 1
		.amdhsa_forward_progress 1
		.amdhsa_shared_vgpr_count 0
		.amdhsa_exception_fp_ieee_invalid_op 0
		.amdhsa_exception_fp_denorm_src 0
		.amdhsa_exception_fp_ieee_div_zero 0
		.amdhsa_exception_fp_ieee_overflow 0
		.amdhsa_exception_fp_ieee_underflow 0
		.amdhsa_exception_fp_ieee_inexact 0
		.amdhsa_exception_int_div_zero 0
	.end_amdhsa_kernel
	.section	.text._Z16warp_load_kernelILj256ELj64ELj32ELN6hipcub17WarpLoadAlgorithmE2EiEvPT3_S3_,"axG",@progbits,_Z16warp_load_kernelILj256ELj64ELj32ELN6hipcub17WarpLoadAlgorithmE2EiEvPT3_S3_,comdat
.Lfunc_end18:
	.size	_Z16warp_load_kernelILj256ELj64ELj32ELN6hipcub17WarpLoadAlgorithmE2EiEvPT3_S3_, .Lfunc_end18-_Z16warp_load_kernelILj256ELj64ELj32ELN6hipcub17WarpLoadAlgorithmE2EiEvPT3_S3_
                                        ; -- End function
	.set _Z16warp_load_kernelILj256ELj64ELj32ELN6hipcub17WarpLoadAlgorithmE2EiEvPT3_S3_.num_vgpr, 79
	.set _Z16warp_load_kernelILj256ELj64ELj32ELN6hipcub17WarpLoadAlgorithmE2EiEvPT3_S3_.num_agpr, 0
	.set _Z16warp_load_kernelILj256ELj64ELj32ELN6hipcub17WarpLoadAlgorithmE2EiEvPT3_S3_.numbered_sgpr, 7
	.set _Z16warp_load_kernelILj256ELj64ELj32ELN6hipcub17WarpLoadAlgorithmE2EiEvPT3_S3_.num_named_barrier, 0
	.set _Z16warp_load_kernelILj256ELj64ELj32ELN6hipcub17WarpLoadAlgorithmE2EiEvPT3_S3_.private_seg_size, 0
	.set _Z16warp_load_kernelILj256ELj64ELj32ELN6hipcub17WarpLoadAlgorithmE2EiEvPT3_S3_.uses_vcc, 1
	.set _Z16warp_load_kernelILj256ELj64ELj32ELN6hipcub17WarpLoadAlgorithmE2EiEvPT3_S3_.uses_flat_scratch, 0
	.set _Z16warp_load_kernelILj256ELj64ELj32ELN6hipcub17WarpLoadAlgorithmE2EiEvPT3_S3_.has_dyn_sized_stack, 0
	.set _Z16warp_load_kernelILj256ELj64ELj32ELN6hipcub17WarpLoadAlgorithmE2EiEvPT3_S3_.has_recursion, 0
	.set _Z16warp_load_kernelILj256ELj64ELj32ELN6hipcub17WarpLoadAlgorithmE2EiEvPT3_S3_.has_indirect_call, 0
	.section	.AMDGPU.csdata,"",@progbits
; Kernel info:
; codeLenInByte = 3024
; TotalNumSgprs: 9
; NumVgprs: 79
; ScratchSize: 0
; MemoryBound: 0
; FloatMode: 240
; IeeeMode: 1
; LDSByteSize: 0 bytes/workgroup (compile time only)
; SGPRBlocks: 0
; VGPRBlocks: 9
; NumSGPRsForWavesPerEU: 9
; NumVGPRsForWavesPerEU: 79
; Occupancy: 12
; WaveLimiterHint : 1
; COMPUTE_PGM_RSRC2:SCRATCH_EN: 0
; COMPUTE_PGM_RSRC2:USER_SGPR: 6
; COMPUTE_PGM_RSRC2:TRAP_HANDLER: 0
; COMPUTE_PGM_RSRC2:TGID_X_EN: 1
; COMPUTE_PGM_RSRC2:TGID_Y_EN: 0
; COMPUTE_PGM_RSRC2:TGID_Z_EN: 0
; COMPUTE_PGM_RSRC2:TIDIG_COMP_CNT: 0
	.section	.text._Z16warp_load_kernelILj256ELj4ELj32ELN6hipcub17WarpLoadAlgorithmE0EdEvPT3_S3_,"axG",@progbits,_Z16warp_load_kernelILj256ELj4ELj32ELN6hipcub17WarpLoadAlgorithmE0EdEvPT3_S3_,comdat
	.protected	_Z16warp_load_kernelILj256ELj4ELj32ELN6hipcub17WarpLoadAlgorithmE0EdEvPT3_S3_ ; -- Begin function _Z16warp_load_kernelILj256ELj4ELj32ELN6hipcub17WarpLoadAlgorithmE0EdEvPT3_S3_
	.globl	_Z16warp_load_kernelILj256ELj4ELj32ELN6hipcub17WarpLoadAlgorithmE0EdEvPT3_S3_
	.p2align	8
	.type	_Z16warp_load_kernelILj256ELj4ELj32ELN6hipcub17WarpLoadAlgorithmE0EdEvPT3_S3_,@function
_Z16warp_load_kernelILj256ELj4ELj32ELN6hipcub17WarpLoadAlgorithmE0EdEvPT3_S3_: ; @_Z16warp_load_kernelILj256ELj4ELj32ELN6hipcub17WarpLoadAlgorithmE0EdEvPT3_S3_
; %bb.0:
	s_load_dwordx4 s[0:3], s[4:5], 0x0
	v_lshlrev_b32_e32 v1, 2, v0
	s_lshl_b32 s4, s6, 10
	v_mov_b32_e32 v10, 0
	v_mbcnt_lo_u32_b32 v3, -1, 0
	v_and_or_b32 v9, 0x380, v1, s4
	v_mov_b32_e32 v12, v10
	v_lshlrev_b32_e32 v3, 5, v3
	v_mov_b32_e32 v14, v10
	v_lshlrev_b64 v[1:2], 3, v[9:10]
	v_or_b32_e32 v9, s4, v0
	v_or_b32_e32 v11, 0x100, v9
	;; [unrolled: 1-line block ×3, first 2 shown]
	v_lshlrev_b64 v[15:16], 3, v[9:10]
	s_waitcnt lgkmcnt(0)
	v_add_co_u32 v1, vcc_lo, s0, v1
	v_add_co_ci_u32_e64 v2, null, s1, v2, vcc_lo
	v_or_b32_e32 v9, 0x300, v9
	v_add_co_u32 v5, vcc_lo, v1, v3
	v_add_co_ci_u32_e64 v6, null, 0, v2, vcc_lo
	v_lshlrev_b64 v[11:12], 3, v[11:12]
	v_lshlrev_b64 v[13:14], 3, v[13:14]
	;; [unrolled: 1-line block ×3, first 2 shown]
	s_clause 0x1
	global_load_dwordx4 v[1:4], v[5:6], off
	global_load_dwordx4 v[5:8], v[5:6], off offset:16
	v_add_co_u32 v15, vcc_lo, s2, v15
	v_add_co_ci_u32_e64 v16, null, s3, v16, vcc_lo
	v_add_co_u32 v11, vcc_lo, s2, v11
	v_add_co_ci_u32_e64 v12, null, s3, v12, vcc_lo
	;; [unrolled: 2-line block ×4, first 2 shown]
	s_waitcnt vmcnt(1)
	global_store_dwordx2 v[15:16], v[1:2], off
	global_store_dwordx2 v[11:12], v[3:4], off
	s_waitcnt vmcnt(0)
	global_store_dwordx2 v[13:14], v[5:6], off
	global_store_dwordx2 v[9:10], v[7:8], off
	s_endpgm
	.section	.rodata,"a",@progbits
	.p2align	6, 0x0
	.amdhsa_kernel _Z16warp_load_kernelILj256ELj4ELj32ELN6hipcub17WarpLoadAlgorithmE0EdEvPT3_S3_
		.amdhsa_group_segment_fixed_size 0
		.amdhsa_private_segment_fixed_size 0
		.amdhsa_kernarg_size 16
		.amdhsa_user_sgpr_count 6
		.amdhsa_user_sgpr_private_segment_buffer 1
		.amdhsa_user_sgpr_dispatch_ptr 0
		.amdhsa_user_sgpr_queue_ptr 0
		.amdhsa_user_sgpr_kernarg_segment_ptr 1
		.amdhsa_user_sgpr_dispatch_id 0
		.amdhsa_user_sgpr_flat_scratch_init 0
		.amdhsa_user_sgpr_private_segment_size 0
		.amdhsa_wavefront_size32 1
		.amdhsa_uses_dynamic_stack 0
		.amdhsa_system_sgpr_private_segment_wavefront_offset 0
		.amdhsa_system_sgpr_workgroup_id_x 1
		.amdhsa_system_sgpr_workgroup_id_y 0
		.amdhsa_system_sgpr_workgroup_id_z 0
		.amdhsa_system_sgpr_workgroup_info 0
		.amdhsa_system_vgpr_workitem_id 0
		.amdhsa_next_free_vgpr 17
		.amdhsa_next_free_sgpr 7
		.amdhsa_reserve_vcc 1
		.amdhsa_reserve_flat_scratch 0
		.amdhsa_float_round_mode_32 0
		.amdhsa_float_round_mode_16_64 0
		.amdhsa_float_denorm_mode_32 3
		.amdhsa_float_denorm_mode_16_64 3
		.amdhsa_dx10_clamp 1
		.amdhsa_ieee_mode 1
		.amdhsa_fp16_overflow 0
		.amdhsa_workgroup_processor_mode 1
		.amdhsa_memory_ordered 1
		.amdhsa_forward_progress 1
		.amdhsa_shared_vgpr_count 0
		.amdhsa_exception_fp_ieee_invalid_op 0
		.amdhsa_exception_fp_denorm_src 0
		.amdhsa_exception_fp_ieee_div_zero 0
		.amdhsa_exception_fp_ieee_overflow 0
		.amdhsa_exception_fp_ieee_underflow 0
		.amdhsa_exception_fp_ieee_inexact 0
		.amdhsa_exception_int_div_zero 0
	.end_amdhsa_kernel
	.section	.text._Z16warp_load_kernelILj256ELj4ELj32ELN6hipcub17WarpLoadAlgorithmE0EdEvPT3_S3_,"axG",@progbits,_Z16warp_load_kernelILj256ELj4ELj32ELN6hipcub17WarpLoadAlgorithmE0EdEvPT3_S3_,comdat
.Lfunc_end19:
	.size	_Z16warp_load_kernelILj256ELj4ELj32ELN6hipcub17WarpLoadAlgorithmE0EdEvPT3_S3_, .Lfunc_end19-_Z16warp_load_kernelILj256ELj4ELj32ELN6hipcub17WarpLoadAlgorithmE0EdEvPT3_S3_
                                        ; -- End function
	.set _Z16warp_load_kernelILj256ELj4ELj32ELN6hipcub17WarpLoadAlgorithmE0EdEvPT3_S3_.num_vgpr, 17
	.set _Z16warp_load_kernelILj256ELj4ELj32ELN6hipcub17WarpLoadAlgorithmE0EdEvPT3_S3_.num_agpr, 0
	.set _Z16warp_load_kernelILj256ELj4ELj32ELN6hipcub17WarpLoadAlgorithmE0EdEvPT3_S3_.numbered_sgpr, 7
	.set _Z16warp_load_kernelILj256ELj4ELj32ELN6hipcub17WarpLoadAlgorithmE0EdEvPT3_S3_.num_named_barrier, 0
	.set _Z16warp_load_kernelILj256ELj4ELj32ELN6hipcub17WarpLoadAlgorithmE0EdEvPT3_S3_.private_seg_size, 0
	.set _Z16warp_load_kernelILj256ELj4ELj32ELN6hipcub17WarpLoadAlgorithmE0EdEvPT3_S3_.uses_vcc, 1
	.set _Z16warp_load_kernelILj256ELj4ELj32ELN6hipcub17WarpLoadAlgorithmE0EdEvPT3_S3_.uses_flat_scratch, 0
	.set _Z16warp_load_kernelILj256ELj4ELj32ELN6hipcub17WarpLoadAlgorithmE0EdEvPT3_S3_.has_dyn_sized_stack, 0
	.set _Z16warp_load_kernelILj256ELj4ELj32ELN6hipcub17WarpLoadAlgorithmE0EdEvPT3_S3_.has_recursion, 0
	.set _Z16warp_load_kernelILj256ELj4ELj32ELN6hipcub17WarpLoadAlgorithmE0EdEvPT3_S3_.has_indirect_call, 0
	.section	.AMDGPU.csdata,"",@progbits
; Kernel info:
; codeLenInByte = 284
; TotalNumSgprs: 9
; NumVgprs: 17
; ScratchSize: 0
; MemoryBound: 0
; FloatMode: 240
; IeeeMode: 1
; LDSByteSize: 0 bytes/workgroup (compile time only)
; SGPRBlocks: 0
; VGPRBlocks: 2
; NumSGPRsForWavesPerEU: 9
; NumVGPRsForWavesPerEU: 17
; Occupancy: 16
; WaveLimiterHint : 0
; COMPUTE_PGM_RSRC2:SCRATCH_EN: 0
; COMPUTE_PGM_RSRC2:USER_SGPR: 6
; COMPUTE_PGM_RSRC2:TRAP_HANDLER: 0
; COMPUTE_PGM_RSRC2:TGID_X_EN: 1
; COMPUTE_PGM_RSRC2:TGID_Y_EN: 0
; COMPUTE_PGM_RSRC2:TGID_Z_EN: 0
; COMPUTE_PGM_RSRC2:TIDIG_COMP_CNT: 0
	.section	.text._Z16warp_load_kernelILj256ELj4ELj32ELN6hipcub17WarpLoadAlgorithmE1EdEvPT3_S3_,"axG",@progbits,_Z16warp_load_kernelILj256ELj4ELj32ELN6hipcub17WarpLoadAlgorithmE1EdEvPT3_S3_,comdat
	.protected	_Z16warp_load_kernelILj256ELj4ELj32ELN6hipcub17WarpLoadAlgorithmE1EdEvPT3_S3_ ; -- Begin function _Z16warp_load_kernelILj256ELj4ELj32ELN6hipcub17WarpLoadAlgorithmE1EdEvPT3_S3_
	.globl	_Z16warp_load_kernelILj256ELj4ELj32ELN6hipcub17WarpLoadAlgorithmE1EdEvPT3_S3_
	.p2align	8
	.type	_Z16warp_load_kernelILj256ELj4ELj32ELN6hipcub17WarpLoadAlgorithmE1EdEvPT3_S3_,@function
_Z16warp_load_kernelILj256ELj4ELj32ELN6hipcub17WarpLoadAlgorithmE1EdEvPT3_S3_: ; @_Z16warp_load_kernelILj256ELj4ELj32ELN6hipcub17WarpLoadAlgorithmE1EdEvPT3_S3_
; %bb.0:
	s_load_dwordx4 s[0:3], s[4:5], 0x0
	v_lshlrev_b32_e32 v1, 2, v0
	s_lshl_b32 s4, s6, 10
	v_mov_b32_e32 v2, 0
	v_mbcnt_lo_u32_b32 v5, -1, 0
	v_and_or_b32 v1, 0x380, v1, s4
	v_mov_b32_e32 v12, v2
	v_mov_b32_e32 v14, v2
	v_lshlrev_b64 v[3:4], 3, v[1:2]
	v_lshlrev_b32_e32 v1, 3, v5
	s_waitcnt lgkmcnt(0)
	v_add_co_u32 v3, vcc_lo, s0, v3
	v_add_co_ci_u32_e64 v4, null, s1, v4, vcc_lo
	v_add_co_u32 v3, vcc_lo, v3, v1
	v_add_co_ci_u32_e64 v4, null, 0, v4, vcc_lo
	v_or_b32_e32 v1, s4, v0
	s_clause 0x3
	global_load_dwordx2 v[5:6], v[3:4], off
	global_load_dwordx2 v[7:8], v[3:4], off offset:256
	global_load_dwordx2 v[9:10], v[3:4], off offset:512
	;; [unrolled: 1-line block ×3, first 2 shown]
	v_or_b32_e32 v11, 0x100, v1
	v_or_b32_e32 v13, 0x200, v1
	v_lshlrev_b64 v[15:16], 3, v[1:2]
	v_or_b32_e32 v1, 0x300, v1
	v_lshlrev_b64 v[11:12], 3, v[11:12]
	v_lshlrev_b64 v[13:14], 3, v[13:14]
	;; [unrolled: 1-line block ×3, first 2 shown]
	v_add_co_u32 v15, vcc_lo, s2, v15
	v_add_co_ci_u32_e64 v16, null, s3, v16, vcc_lo
	v_add_co_u32 v11, vcc_lo, s2, v11
	v_add_co_ci_u32_e64 v12, null, s3, v12, vcc_lo
	;; [unrolled: 2-line block ×4, first 2 shown]
	s_waitcnt vmcnt(3)
	global_store_dwordx2 v[15:16], v[5:6], off
	s_waitcnt vmcnt(2)
	global_store_dwordx2 v[11:12], v[7:8], off
	;; [unrolled: 2-line block ×4, first 2 shown]
	s_endpgm
	.section	.rodata,"a",@progbits
	.p2align	6, 0x0
	.amdhsa_kernel _Z16warp_load_kernelILj256ELj4ELj32ELN6hipcub17WarpLoadAlgorithmE1EdEvPT3_S3_
		.amdhsa_group_segment_fixed_size 0
		.amdhsa_private_segment_fixed_size 0
		.amdhsa_kernarg_size 16
		.amdhsa_user_sgpr_count 6
		.amdhsa_user_sgpr_private_segment_buffer 1
		.amdhsa_user_sgpr_dispatch_ptr 0
		.amdhsa_user_sgpr_queue_ptr 0
		.amdhsa_user_sgpr_kernarg_segment_ptr 1
		.amdhsa_user_sgpr_dispatch_id 0
		.amdhsa_user_sgpr_flat_scratch_init 0
		.amdhsa_user_sgpr_private_segment_size 0
		.amdhsa_wavefront_size32 1
		.amdhsa_uses_dynamic_stack 0
		.amdhsa_system_sgpr_private_segment_wavefront_offset 0
		.amdhsa_system_sgpr_workgroup_id_x 1
		.amdhsa_system_sgpr_workgroup_id_y 0
		.amdhsa_system_sgpr_workgroup_id_z 0
		.amdhsa_system_sgpr_workgroup_info 0
		.amdhsa_system_vgpr_workitem_id 0
		.amdhsa_next_free_vgpr 17
		.amdhsa_next_free_sgpr 7
		.amdhsa_reserve_vcc 1
		.amdhsa_reserve_flat_scratch 0
		.amdhsa_float_round_mode_32 0
		.amdhsa_float_round_mode_16_64 0
		.amdhsa_float_denorm_mode_32 3
		.amdhsa_float_denorm_mode_16_64 3
		.amdhsa_dx10_clamp 1
		.amdhsa_ieee_mode 1
		.amdhsa_fp16_overflow 0
		.amdhsa_workgroup_processor_mode 1
		.amdhsa_memory_ordered 1
		.amdhsa_forward_progress 1
		.amdhsa_shared_vgpr_count 0
		.amdhsa_exception_fp_ieee_invalid_op 0
		.amdhsa_exception_fp_denorm_src 0
		.amdhsa_exception_fp_ieee_div_zero 0
		.amdhsa_exception_fp_ieee_overflow 0
		.amdhsa_exception_fp_ieee_underflow 0
		.amdhsa_exception_fp_ieee_inexact 0
		.amdhsa_exception_int_div_zero 0
	.end_amdhsa_kernel
	.section	.text._Z16warp_load_kernelILj256ELj4ELj32ELN6hipcub17WarpLoadAlgorithmE1EdEvPT3_S3_,"axG",@progbits,_Z16warp_load_kernelILj256ELj4ELj32ELN6hipcub17WarpLoadAlgorithmE1EdEvPT3_S3_,comdat
.Lfunc_end20:
	.size	_Z16warp_load_kernelILj256ELj4ELj32ELN6hipcub17WarpLoadAlgorithmE1EdEvPT3_S3_, .Lfunc_end20-_Z16warp_load_kernelILj256ELj4ELj32ELN6hipcub17WarpLoadAlgorithmE1EdEvPT3_S3_
                                        ; -- End function
	.set _Z16warp_load_kernelILj256ELj4ELj32ELN6hipcub17WarpLoadAlgorithmE1EdEvPT3_S3_.num_vgpr, 17
	.set _Z16warp_load_kernelILj256ELj4ELj32ELN6hipcub17WarpLoadAlgorithmE1EdEvPT3_S3_.num_agpr, 0
	.set _Z16warp_load_kernelILj256ELj4ELj32ELN6hipcub17WarpLoadAlgorithmE1EdEvPT3_S3_.numbered_sgpr, 7
	.set _Z16warp_load_kernelILj256ELj4ELj32ELN6hipcub17WarpLoadAlgorithmE1EdEvPT3_S3_.num_named_barrier, 0
	.set _Z16warp_load_kernelILj256ELj4ELj32ELN6hipcub17WarpLoadAlgorithmE1EdEvPT3_S3_.private_seg_size, 0
	.set _Z16warp_load_kernelILj256ELj4ELj32ELN6hipcub17WarpLoadAlgorithmE1EdEvPT3_S3_.uses_vcc, 1
	.set _Z16warp_load_kernelILj256ELj4ELj32ELN6hipcub17WarpLoadAlgorithmE1EdEvPT3_S3_.uses_flat_scratch, 0
	.set _Z16warp_load_kernelILj256ELj4ELj32ELN6hipcub17WarpLoadAlgorithmE1EdEvPT3_S3_.has_dyn_sized_stack, 0
	.set _Z16warp_load_kernelILj256ELj4ELj32ELN6hipcub17WarpLoadAlgorithmE1EdEvPT3_S3_.has_recursion, 0
	.set _Z16warp_load_kernelILj256ELj4ELj32ELN6hipcub17WarpLoadAlgorithmE1EdEvPT3_S3_.has_indirect_call, 0
	.section	.AMDGPU.csdata,"",@progbits
; Kernel info:
; codeLenInByte = 308
; TotalNumSgprs: 9
; NumVgprs: 17
; ScratchSize: 0
; MemoryBound: 0
; FloatMode: 240
; IeeeMode: 1
; LDSByteSize: 0 bytes/workgroup (compile time only)
; SGPRBlocks: 0
; VGPRBlocks: 2
; NumSGPRsForWavesPerEU: 9
; NumVGPRsForWavesPerEU: 17
; Occupancy: 16
; WaveLimiterHint : 1
; COMPUTE_PGM_RSRC2:SCRATCH_EN: 0
; COMPUTE_PGM_RSRC2:USER_SGPR: 6
; COMPUTE_PGM_RSRC2:TRAP_HANDLER: 0
; COMPUTE_PGM_RSRC2:TGID_X_EN: 1
; COMPUTE_PGM_RSRC2:TGID_Y_EN: 0
; COMPUTE_PGM_RSRC2:TGID_Z_EN: 0
; COMPUTE_PGM_RSRC2:TIDIG_COMP_CNT: 0
	.section	.text._Z16warp_load_kernelILj256ELj4ELj32ELN6hipcub17WarpLoadAlgorithmE2EdEvPT3_S3_,"axG",@progbits,_Z16warp_load_kernelILj256ELj4ELj32ELN6hipcub17WarpLoadAlgorithmE2EdEvPT3_S3_,comdat
	.protected	_Z16warp_load_kernelILj256ELj4ELj32ELN6hipcub17WarpLoadAlgorithmE2EdEvPT3_S3_ ; -- Begin function _Z16warp_load_kernelILj256ELj4ELj32ELN6hipcub17WarpLoadAlgorithmE2EdEvPT3_S3_
	.globl	_Z16warp_load_kernelILj256ELj4ELj32ELN6hipcub17WarpLoadAlgorithmE2EdEvPT3_S3_
	.p2align	8
	.type	_Z16warp_load_kernelILj256ELj4ELj32ELN6hipcub17WarpLoadAlgorithmE2EdEvPT3_S3_,@function
_Z16warp_load_kernelILj256ELj4ELj32ELN6hipcub17WarpLoadAlgorithmE2EdEvPT3_S3_: ; @_Z16warp_load_kernelILj256ELj4ELj32ELN6hipcub17WarpLoadAlgorithmE2EdEvPT3_S3_
; %bb.0:
	s_load_dwordx4 s[0:3], s[4:5], 0x0
	v_lshlrev_b32_e32 v1, 2, v0
	s_lshl_b32 s4, s6, 10
	v_mov_b32_e32 v10, 0
	v_mbcnt_lo_u32_b32 v3, -1, 0
	v_and_or_b32 v9, 0x380, v1, s4
	v_mov_b32_e32 v12, v10
	v_lshlrev_b32_e32 v3, 5, v3
	v_mov_b32_e32 v14, v10
	v_lshlrev_b64 v[1:2], 3, v[9:10]
	v_or_b32_e32 v9, s4, v0
	v_or_b32_e32 v11, 0x100, v9
	;; [unrolled: 1-line block ×3, first 2 shown]
	v_lshlrev_b64 v[15:16], 3, v[9:10]
	s_waitcnt lgkmcnt(0)
	v_add_co_u32 v1, vcc_lo, s0, v1
	v_add_co_ci_u32_e64 v2, null, s1, v2, vcc_lo
	v_or_b32_e32 v9, 0x300, v9
	v_add_co_u32 v5, vcc_lo, v1, v3
	v_add_co_ci_u32_e64 v6, null, 0, v2, vcc_lo
	v_lshlrev_b64 v[11:12], 3, v[11:12]
	v_lshlrev_b64 v[13:14], 3, v[13:14]
	v_lshlrev_b64 v[9:10], 3, v[9:10]
	s_clause 0x1
	global_load_dwordx4 v[1:4], v[5:6], off
	global_load_dwordx4 v[5:8], v[5:6], off offset:16
	v_add_co_u32 v15, vcc_lo, s2, v15
	v_add_co_ci_u32_e64 v16, null, s3, v16, vcc_lo
	v_add_co_u32 v11, vcc_lo, s2, v11
	v_add_co_ci_u32_e64 v12, null, s3, v12, vcc_lo
	;; [unrolled: 2-line block ×4, first 2 shown]
	s_waitcnt vmcnt(1)
	global_store_dwordx2 v[15:16], v[1:2], off
	global_store_dwordx2 v[11:12], v[3:4], off
	s_waitcnt vmcnt(0)
	global_store_dwordx2 v[13:14], v[5:6], off
	global_store_dwordx2 v[9:10], v[7:8], off
	s_endpgm
	.section	.rodata,"a",@progbits
	.p2align	6, 0x0
	.amdhsa_kernel _Z16warp_load_kernelILj256ELj4ELj32ELN6hipcub17WarpLoadAlgorithmE2EdEvPT3_S3_
		.amdhsa_group_segment_fixed_size 0
		.amdhsa_private_segment_fixed_size 0
		.amdhsa_kernarg_size 16
		.amdhsa_user_sgpr_count 6
		.amdhsa_user_sgpr_private_segment_buffer 1
		.amdhsa_user_sgpr_dispatch_ptr 0
		.amdhsa_user_sgpr_queue_ptr 0
		.amdhsa_user_sgpr_kernarg_segment_ptr 1
		.amdhsa_user_sgpr_dispatch_id 0
		.amdhsa_user_sgpr_flat_scratch_init 0
		.amdhsa_user_sgpr_private_segment_size 0
		.amdhsa_wavefront_size32 1
		.amdhsa_uses_dynamic_stack 0
		.amdhsa_system_sgpr_private_segment_wavefront_offset 0
		.amdhsa_system_sgpr_workgroup_id_x 1
		.amdhsa_system_sgpr_workgroup_id_y 0
		.amdhsa_system_sgpr_workgroup_id_z 0
		.amdhsa_system_sgpr_workgroup_info 0
		.amdhsa_system_vgpr_workitem_id 0
		.amdhsa_next_free_vgpr 17
		.amdhsa_next_free_sgpr 7
		.amdhsa_reserve_vcc 1
		.amdhsa_reserve_flat_scratch 0
		.amdhsa_float_round_mode_32 0
		.amdhsa_float_round_mode_16_64 0
		.amdhsa_float_denorm_mode_32 3
		.amdhsa_float_denorm_mode_16_64 3
		.amdhsa_dx10_clamp 1
		.amdhsa_ieee_mode 1
		.amdhsa_fp16_overflow 0
		.amdhsa_workgroup_processor_mode 1
		.amdhsa_memory_ordered 1
		.amdhsa_forward_progress 1
		.amdhsa_shared_vgpr_count 0
		.amdhsa_exception_fp_ieee_invalid_op 0
		.amdhsa_exception_fp_denorm_src 0
		.amdhsa_exception_fp_ieee_div_zero 0
		.amdhsa_exception_fp_ieee_overflow 0
		.amdhsa_exception_fp_ieee_underflow 0
		.amdhsa_exception_fp_ieee_inexact 0
		.amdhsa_exception_int_div_zero 0
	.end_amdhsa_kernel
	.section	.text._Z16warp_load_kernelILj256ELj4ELj32ELN6hipcub17WarpLoadAlgorithmE2EdEvPT3_S3_,"axG",@progbits,_Z16warp_load_kernelILj256ELj4ELj32ELN6hipcub17WarpLoadAlgorithmE2EdEvPT3_S3_,comdat
.Lfunc_end21:
	.size	_Z16warp_load_kernelILj256ELj4ELj32ELN6hipcub17WarpLoadAlgorithmE2EdEvPT3_S3_, .Lfunc_end21-_Z16warp_load_kernelILj256ELj4ELj32ELN6hipcub17WarpLoadAlgorithmE2EdEvPT3_S3_
                                        ; -- End function
	.set _Z16warp_load_kernelILj256ELj4ELj32ELN6hipcub17WarpLoadAlgorithmE2EdEvPT3_S3_.num_vgpr, 17
	.set _Z16warp_load_kernelILj256ELj4ELj32ELN6hipcub17WarpLoadAlgorithmE2EdEvPT3_S3_.num_agpr, 0
	.set _Z16warp_load_kernelILj256ELj4ELj32ELN6hipcub17WarpLoadAlgorithmE2EdEvPT3_S3_.numbered_sgpr, 7
	.set _Z16warp_load_kernelILj256ELj4ELj32ELN6hipcub17WarpLoadAlgorithmE2EdEvPT3_S3_.num_named_barrier, 0
	.set _Z16warp_load_kernelILj256ELj4ELj32ELN6hipcub17WarpLoadAlgorithmE2EdEvPT3_S3_.private_seg_size, 0
	.set _Z16warp_load_kernelILj256ELj4ELj32ELN6hipcub17WarpLoadAlgorithmE2EdEvPT3_S3_.uses_vcc, 1
	.set _Z16warp_load_kernelILj256ELj4ELj32ELN6hipcub17WarpLoadAlgorithmE2EdEvPT3_S3_.uses_flat_scratch, 0
	.set _Z16warp_load_kernelILj256ELj4ELj32ELN6hipcub17WarpLoadAlgorithmE2EdEvPT3_S3_.has_dyn_sized_stack, 0
	.set _Z16warp_load_kernelILj256ELj4ELj32ELN6hipcub17WarpLoadAlgorithmE2EdEvPT3_S3_.has_recursion, 0
	.set _Z16warp_load_kernelILj256ELj4ELj32ELN6hipcub17WarpLoadAlgorithmE2EdEvPT3_S3_.has_indirect_call, 0
	.section	.AMDGPU.csdata,"",@progbits
; Kernel info:
; codeLenInByte = 284
; TotalNumSgprs: 9
; NumVgprs: 17
; ScratchSize: 0
; MemoryBound: 0
; FloatMode: 240
; IeeeMode: 1
; LDSByteSize: 0 bytes/workgroup (compile time only)
; SGPRBlocks: 0
; VGPRBlocks: 2
; NumSGPRsForWavesPerEU: 9
; NumVGPRsForWavesPerEU: 17
; Occupancy: 16
; WaveLimiterHint : 0
; COMPUTE_PGM_RSRC2:SCRATCH_EN: 0
; COMPUTE_PGM_RSRC2:USER_SGPR: 6
; COMPUTE_PGM_RSRC2:TRAP_HANDLER: 0
; COMPUTE_PGM_RSRC2:TGID_X_EN: 1
; COMPUTE_PGM_RSRC2:TGID_Y_EN: 0
; COMPUTE_PGM_RSRC2:TGID_Z_EN: 0
; COMPUTE_PGM_RSRC2:TIDIG_COMP_CNT: 0
	.section	.text._Z16warp_load_kernelILj256ELj4ELj32ELN6hipcub17WarpLoadAlgorithmE3EdEvPT3_S3_,"axG",@progbits,_Z16warp_load_kernelILj256ELj4ELj32ELN6hipcub17WarpLoadAlgorithmE3EdEvPT3_S3_,comdat
	.protected	_Z16warp_load_kernelILj256ELj4ELj32ELN6hipcub17WarpLoadAlgorithmE3EdEvPT3_S3_ ; -- Begin function _Z16warp_load_kernelILj256ELj4ELj32ELN6hipcub17WarpLoadAlgorithmE3EdEvPT3_S3_
	.globl	_Z16warp_load_kernelILj256ELj4ELj32ELN6hipcub17WarpLoadAlgorithmE3EdEvPT3_S3_
	.p2align	8
	.type	_Z16warp_load_kernelILj256ELj4ELj32ELN6hipcub17WarpLoadAlgorithmE3EdEvPT3_S3_,@function
_Z16warp_load_kernelILj256ELj4ELj32ELN6hipcub17WarpLoadAlgorithmE3EdEvPT3_S3_: ; @_Z16warp_load_kernelILj256ELj4ELj32ELN6hipcub17WarpLoadAlgorithmE3EdEvPT3_S3_
; %bb.0:
	s_load_dwordx4 s[0:3], s[4:5], 0x0
	v_lshrrev_b32_e32 v3, 5, v0
	s_lshl_b32 s4, s6, 10
	v_mov_b32_e32 v5, 0
	v_mbcnt_lo_u32_b32 v16, -1, 0
	v_lshl_or_b32 v4, v3, 7, s4
	v_lshlrev_b32_e32 v3, 10, v3
	v_mov_b32_e32 v13, v5
	v_lshlrev_b32_e32 v12, 3, v16
	v_mov_b32_e32 v15, v5
	v_lshlrev_b64 v[1:2], 3, v[4:5]
	v_or_b32_e32 v4, s4, v0
	v_lshl_or_b32 v18, v16, 5, v3
	v_or_b32_e32 v0, v3, v12
	v_or_b32_e32 v14, 0x200, v4
	v_lshlrev_b64 v[16:17], 3, v[4:5]
	s_waitcnt lgkmcnt(0)
	v_add_co_u32 v1, vcc_lo, s0, v1
	v_add_co_ci_u32_e64 v2, null, s1, v2, vcc_lo
	v_lshlrev_b64 v[14:15], 3, v[14:15]
	v_add_co_u32 v1, vcc_lo, v1, v12
	v_add_co_ci_u32_e64 v2, null, 0, v2, vcc_lo
	v_or_b32_e32 v12, 0x100, v4
	v_or_b32_e32 v4, 0x300, v4
	s_clause 0x3
	global_load_dwordx2 v[6:7], v[1:2], off
	global_load_dwordx2 v[8:9], v[1:2], off offset:256
	global_load_dwordx2 v[10:11], v[1:2], off offset:512
	;; [unrolled: 1-line block ×3, first 2 shown]
	s_waitcnt vmcnt(2)
	ds_write2_b64 v0, v[6:7], v[8:9] offset1:32
	s_waitcnt vmcnt(0)
	ds_write2_b64 v0, v[10:11], v[1:2] offset0:64 offset1:96
	; wave barrier
	ds_read_b128 v[0:3], v18
	v_lshlrev_b64 v[8:9], 3, v[4:5]
	ds_read_b128 v[4:7], v18 offset:16
	v_lshlrev_b64 v[12:13], 3, v[12:13]
	v_add_co_u32 v10, vcc_lo, s2, v16
	v_add_co_ci_u32_e64 v11, null, s3, v17, vcc_lo
	v_add_co_u32 v12, vcc_lo, s2, v12
	v_add_co_ci_u32_e64 v13, null, s3, v13, vcc_lo
	;; [unrolled: 2-line block ×4, first 2 shown]
	s_waitcnt lgkmcnt(1)
	global_store_dwordx2 v[10:11], v[0:1], off
	global_store_dwordx2 v[12:13], v[2:3], off
	s_waitcnt lgkmcnt(0)
	global_store_dwordx2 v[14:15], v[4:5], off
	global_store_dwordx2 v[8:9], v[6:7], off
	s_endpgm
	.section	.rodata,"a",@progbits
	.p2align	6, 0x0
	.amdhsa_kernel _Z16warp_load_kernelILj256ELj4ELj32ELN6hipcub17WarpLoadAlgorithmE3EdEvPT3_S3_
		.amdhsa_group_segment_fixed_size 8192
		.amdhsa_private_segment_fixed_size 0
		.amdhsa_kernarg_size 16
		.amdhsa_user_sgpr_count 6
		.amdhsa_user_sgpr_private_segment_buffer 1
		.amdhsa_user_sgpr_dispatch_ptr 0
		.amdhsa_user_sgpr_queue_ptr 0
		.amdhsa_user_sgpr_kernarg_segment_ptr 1
		.amdhsa_user_sgpr_dispatch_id 0
		.amdhsa_user_sgpr_flat_scratch_init 0
		.amdhsa_user_sgpr_private_segment_size 0
		.amdhsa_wavefront_size32 1
		.amdhsa_uses_dynamic_stack 0
		.amdhsa_system_sgpr_private_segment_wavefront_offset 0
		.amdhsa_system_sgpr_workgroup_id_x 1
		.amdhsa_system_sgpr_workgroup_id_y 0
		.amdhsa_system_sgpr_workgroup_id_z 0
		.amdhsa_system_sgpr_workgroup_info 0
		.amdhsa_system_vgpr_workitem_id 0
		.amdhsa_next_free_vgpr 19
		.amdhsa_next_free_sgpr 7
		.amdhsa_reserve_vcc 1
		.amdhsa_reserve_flat_scratch 0
		.amdhsa_float_round_mode_32 0
		.amdhsa_float_round_mode_16_64 0
		.amdhsa_float_denorm_mode_32 3
		.amdhsa_float_denorm_mode_16_64 3
		.amdhsa_dx10_clamp 1
		.amdhsa_ieee_mode 1
		.amdhsa_fp16_overflow 0
		.amdhsa_workgroup_processor_mode 1
		.amdhsa_memory_ordered 1
		.amdhsa_forward_progress 1
		.amdhsa_shared_vgpr_count 0
		.amdhsa_exception_fp_ieee_invalid_op 0
		.amdhsa_exception_fp_denorm_src 0
		.amdhsa_exception_fp_ieee_div_zero 0
		.amdhsa_exception_fp_ieee_overflow 0
		.amdhsa_exception_fp_ieee_underflow 0
		.amdhsa_exception_fp_ieee_inexact 0
		.amdhsa_exception_int_div_zero 0
	.end_amdhsa_kernel
	.section	.text._Z16warp_load_kernelILj256ELj4ELj32ELN6hipcub17WarpLoadAlgorithmE3EdEvPT3_S3_,"axG",@progbits,_Z16warp_load_kernelILj256ELj4ELj32ELN6hipcub17WarpLoadAlgorithmE3EdEvPT3_S3_,comdat
.Lfunc_end22:
	.size	_Z16warp_load_kernelILj256ELj4ELj32ELN6hipcub17WarpLoadAlgorithmE3EdEvPT3_S3_, .Lfunc_end22-_Z16warp_load_kernelILj256ELj4ELj32ELN6hipcub17WarpLoadAlgorithmE3EdEvPT3_S3_
                                        ; -- End function
	.set _Z16warp_load_kernelILj256ELj4ELj32ELN6hipcub17WarpLoadAlgorithmE3EdEvPT3_S3_.num_vgpr, 19
	.set _Z16warp_load_kernelILj256ELj4ELj32ELN6hipcub17WarpLoadAlgorithmE3EdEvPT3_S3_.num_agpr, 0
	.set _Z16warp_load_kernelILj256ELj4ELj32ELN6hipcub17WarpLoadAlgorithmE3EdEvPT3_S3_.numbered_sgpr, 7
	.set _Z16warp_load_kernelILj256ELj4ELj32ELN6hipcub17WarpLoadAlgorithmE3EdEvPT3_S3_.num_named_barrier, 0
	.set _Z16warp_load_kernelILj256ELj4ELj32ELN6hipcub17WarpLoadAlgorithmE3EdEvPT3_S3_.private_seg_size, 0
	.set _Z16warp_load_kernelILj256ELj4ELj32ELN6hipcub17WarpLoadAlgorithmE3EdEvPT3_S3_.uses_vcc, 1
	.set _Z16warp_load_kernelILj256ELj4ELj32ELN6hipcub17WarpLoadAlgorithmE3EdEvPT3_S3_.uses_flat_scratch, 0
	.set _Z16warp_load_kernelILj256ELj4ELj32ELN6hipcub17WarpLoadAlgorithmE3EdEvPT3_S3_.has_dyn_sized_stack, 0
	.set _Z16warp_load_kernelILj256ELj4ELj32ELN6hipcub17WarpLoadAlgorithmE3EdEvPT3_S3_.has_recursion, 0
	.set _Z16warp_load_kernelILj256ELj4ELj32ELN6hipcub17WarpLoadAlgorithmE3EdEvPT3_S3_.has_indirect_call, 0
	.section	.AMDGPU.csdata,"",@progbits
; Kernel info:
; codeLenInByte = 352
; TotalNumSgprs: 9
; NumVgprs: 19
; ScratchSize: 0
; MemoryBound: 1
; FloatMode: 240
; IeeeMode: 1
; LDSByteSize: 8192 bytes/workgroup (compile time only)
; SGPRBlocks: 0
; VGPRBlocks: 2
; NumSGPRsForWavesPerEU: 9
; NumVGPRsForWavesPerEU: 19
; Occupancy: 16
; WaveLimiterHint : 1
; COMPUTE_PGM_RSRC2:SCRATCH_EN: 0
; COMPUTE_PGM_RSRC2:USER_SGPR: 6
; COMPUTE_PGM_RSRC2:TRAP_HANDLER: 0
; COMPUTE_PGM_RSRC2:TGID_X_EN: 1
; COMPUTE_PGM_RSRC2:TGID_Y_EN: 0
; COMPUTE_PGM_RSRC2:TGID_Z_EN: 0
; COMPUTE_PGM_RSRC2:TIDIG_COMP_CNT: 0
	.section	.text._Z16warp_load_kernelILj256ELj8ELj32ELN6hipcub17WarpLoadAlgorithmE0EdEvPT3_S3_,"axG",@progbits,_Z16warp_load_kernelILj256ELj8ELj32ELN6hipcub17WarpLoadAlgorithmE0EdEvPT3_S3_,comdat
	.protected	_Z16warp_load_kernelILj256ELj8ELj32ELN6hipcub17WarpLoadAlgorithmE0EdEvPT3_S3_ ; -- Begin function _Z16warp_load_kernelILj256ELj8ELj32ELN6hipcub17WarpLoadAlgorithmE0EdEvPT3_S3_
	.globl	_Z16warp_load_kernelILj256ELj8ELj32ELN6hipcub17WarpLoadAlgorithmE0EdEvPT3_S3_
	.p2align	8
	.type	_Z16warp_load_kernelILj256ELj8ELj32ELN6hipcub17WarpLoadAlgorithmE0EdEvPT3_S3_,@function
_Z16warp_load_kernelILj256ELj8ELj32ELN6hipcub17WarpLoadAlgorithmE0EdEvPT3_S3_: ; @_Z16warp_load_kernelILj256ELj8ELj32ELN6hipcub17WarpLoadAlgorithmE0EdEvPT3_S3_
; %bb.0:
	s_load_dwordx4 s[0:3], s[4:5], 0x0
	v_lshlrev_b32_e32 v1, 3, v0
	s_lshl_b32 s4, s6, 11
	v_mov_b32_e32 v18, 0
	v_mbcnt_lo_u32_b32 v3, -1, 0
	v_and_or_b32 v17, 0x700, v1, s4
	v_mov_b32_e32 v20, v18
	v_lshlrev_b32_e32 v3, 6, v3
	v_mov_b32_e32 v22, v18
	v_lshlrev_b64 v[1:2], 3, v[17:18]
	v_or_b32_e32 v17, s4, v0
	v_mov_b32_e32 v24, v18
	v_mov_b32_e32 v26, v18
	;; [unrolled: 1-line block ×4, first 2 shown]
	v_or_b32_e32 v19, 0x100, v17
	v_or_b32_e32 v21, 0x200, v17
	v_lshlrev_b64 v[31:32], 3, v[17:18]
	s_waitcnt lgkmcnt(0)
	v_add_co_u32 v1, vcc_lo, s0, v1
	v_add_co_ci_u32_e64 v2, null, s1, v2, vcc_lo
	v_or_b32_e32 v23, 0x300, v17
	v_add_co_u32 v13, vcc_lo, v1, v3
	v_add_co_ci_u32_e64 v14, null, 0, v2, vcc_lo
	v_lshlrev_b64 v[19:20], 3, v[19:20]
	v_or_b32_e32 v25, 0x400, v17
	v_lshlrev_b64 v[21:22], 3, v[21:22]
	s_clause 0x3
	global_load_dwordx4 v[1:4], v[13:14], off
	global_load_dwordx4 v[5:8], v[13:14], off offset:16
	global_load_dwordx4 v[9:12], v[13:14], off offset:32
	;; [unrolled: 1-line block ×3, first 2 shown]
	v_or_b32_e32 v27, 0x500, v17
	v_lshlrev_b64 v[23:24], 3, v[23:24]
	v_add_co_u32 v31, vcc_lo, s2, v31
	v_or_b32_e32 v29, 0x600, v17
	v_lshlrev_b64 v[25:26], 3, v[25:26]
	v_add_co_ci_u32_e64 v32, null, s3, v32, vcc_lo
	v_add_co_u32 v19, vcc_lo, s2, v19
	v_or_b32_e32 v17, 0x700, v17
	v_lshlrev_b64 v[27:28], 3, v[27:28]
	v_add_co_ci_u32_e64 v20, null, s3, v20, vcc_lo
	v_add_co_u32 v21, vcc_lo, s2, v21
	v_lshlrev_b64 v[29:30], 3, v[29:30]
	v_add_co_ci_u32_e64 v22, null, s3, v22, vcc_lo
	v_add_co_u32 v23, vcc_lo, s2, v23
	v_lshlrev_b64 v[17:18], 3, v[17:18]
	v_add_co_ci_u32_e64 v24, null, s3, v24, vcc_lo
	v_add_co_u32 v25, vcc_lo, s2, v25
	v_add_co_ci_u32_e64 v26, null, s3, v26, vcc_lo
	v_add_co_u32 v27, vcc_lo, s2, v27
	v_add_co_ci_u32_e64 v28, null, s3, v28, vcc_lo
	v_add_co_u32 v29, vcc_lo, s2, v29
	;; [unrolled: 2-line block ×3, first 2 shown]
	v_add_co_ci_u32_e64 v18, null, s3, v18, vcc_lo
	s_waitcnt vmcnt(3)
	global_store_dwordx2 v[31:32], v[1:2], off
	global_store_dwordx2 v[19:20], v[3:4], off
	s_waitcnt vmcnt(2)
	global_store_dwordx2 v[21:22], v[5:6], off
	global_store_dwordx2 v[23:24], v[7:8], off
	s_waitcnt vmcnt(1)
	global_store_dwordx2 v[25:26], v[9:10], off
	global_store_dwordx2 v[27:28], v[11:12], off
	s_waitcnt vmcnt(0)
	global_store_dwordx2 v[29:30], v[13:14], off
	global_store_dwordx2 v[17:18], v[15:16], off
	s_endpgm
	.section	.rodata,"a",@progbits
	.p2align	6, 0x0
	.amdhsa_kernel _Z16warp_load_kernelILj256ELj8ELj32ELN6hipcub17WarpLoadAlgorithmE0EdEvPT3_S3_
		.amdhsa_group_segment_fixed_size 0
		.amdhsa_private_segment_fixed_size 0
		.amdhsa_kernarg_size 16
		.amdhsa_user_sgpr_count 6
		.amdhsa_user_sgpr_private_segment_buffer 1
		.amdhsa_user_sgpr_dispatch_ptr 0
		.amdhsa_user_sgpr_queue_ptr 0
		.amdhsa_user_sgpr_kernarg_segment_ptr 1
		.amdhsa_user_sgpr_dispatch_id 0
		.amdhsa_user_sgpr_flat_scratch_init 0
		.amdhsa_user_sgpr_private_segment_size 0
		.amdhsa_wavefront_size32 1
		.amdhsa_uses_dynamic_stack 0
		.amdhsa_system_sgpr_private_segment_wavefront_offset 0
		.amdhsa_system_sgpr_workgroup_id_x 1
		.amdhsa_system_sgpr_workgroup_id_y 0
		.amdhsa_system_sgpr_workgroup_id_z 0
		.amdhsa_system_sgpr_workgroup_info 0
		.amdhsa_system_vgpr_workitem_id 0
		.amdhsa_next_free_vgpr 33
		.amdhsa_next_free_sgpr 7
		.amdhsa_reserve_vcc 1
		.amdhsa_reserve_flat_scratch 0
		.amdhsa_float_round_mode_32 0
		.amdhsa_float_round_mode_16_64 0
		.amdhsa_float_denorm_mode_32 3
		.amdhsa_float_denorm_mode_16_64 3
		.amdhsa_dx10_clamp 1
		.amdhsa_ieee_mode 1
		.amdhsa_fp16_overflow 0
		.amdhsa_workgroup_processor_mode 1
		.amdhsa_memory_ordered 1
		.amdhsa_forward_progress 1
		.amdhsa_shared_vgpr_count 0
		.amdhsa_exception_fp_ieee_invalid_op 0
		.amdhsa_exception_fp_denorm_src 0
		.amdhsa_exception_fp_ieee_div_zero 0
		.amdhsa_exception_fp_ieee_overflow 0
		.amdhsa_exception_fp_ieee_underflow 0
		.amdhsa_exception_fp_ieee_inexact 0
		.amdhsa_exception_int_div_zero 0
	.end_amdhsa_kernel
	.section	.text._Z16warp_load_kernelILj256ELj8ELj32ELN6hipcub17WarpLoadAlgorithmE0EdEvPT3_S3_,"axG",@progbits,_Z16warp_load_kernelILj256ELj8ELj32ELN6hipcub17WarpLoadAlgorithmE0EdEvPT3_S3_,comdat
.Lfunc_end23:
	.size	_Z16warp_load_kernelILj256ELj8ELj32ELN6hipcub17WarpLoadAlgorithmE0EdEvPT3_S3_, .Lfunc_end23-_Z16warp_load_kernelILj256ELj8ELj32ELN6hipcub17WarpLoadAlgorithmE0EdEvPT3_S3_
                                        ; -- End function
	.set _Z16warp_load_kernelILj256ELj8ELj32ELN6hipcub17WarpLoadAlgorithmE0EdEvPT3_S3_.num_vgpr, 33
	.set _Z16warp_load_kernelILj256ELj8ELj32ELN6hipcub17WarpLoadAlgorithmE0EdEvPT3_S3_.num_agpr, 0
	.set _Z16warp_load_kernelILj256ELj8ELj32ELN6hipcub17WarpLoadAlgorithmE0EdEvPT3_S3_.numbered_sgpr, 7
	.set _Z16warp_load_kernelILj256ELj8ELj32ELN6hipcub17WarpLoadAlgorithmE0EdEvPT3_S3_.num_named_barrier, 0
	.set _Z16warp_load_kernelILj256ELj8ELj32ELN6hipcub17WarpLoadAlgorithmE0EdEvPT3_S3_.private_seg_size, 0
	.set _Z16warp_load_kernelILj256ELj8ELj32ELN6hipcub17WarpLoadAlgorithmE0EdEvPT3_S3_.uses_vcc, 1
	.set _Z16warp_load_kernelILj256ELj8ELj32ELN6hipcub17WarpLoadAlgorithmE0EdEvPT3_S3_.uses_flat_scratch, 0
	.set _Z16warp_load_kernelILj256ELj8ELj32ELN6hipcub17WarpLoadAlgorithmE0EdEvPT3_S3_.has_dyn_sized_stack, 0
	.set _Z16warp_load_kernelILj256ELj8ELj32ELN6hipcub17WarpLoadAlgorithmE0EdEvPT3_S3_.has_recursion, 0
	.set _Z16warp_load_kernelILj256ELj8ELj32ELN6hipcub17WarpLoadAlgorithmE0EdEvPT3_S3_.has_indirect_call, 0
	.section	.AMDGPU.csdata,"",@progbits
; Kernel info:
; codeLenInByte = 484
; TotalNumSgprs: 9
; NumVgprs: 33
; ScratchSize: 0
; MemoryBound: 0
; FloatMode: 240
; IeeeMode: 1
; LDSByteSize: 0 bytes/workgroup (compile time only)
; SGPRBlocks: 0
; VGPRBlocks: 4
; NumSGPRsForWavesPerEU: 9
; NumVGPRsForWavesPerEU: 33
; Occupancy: 16
; WaveLimiterHint : 0
; COMPUTE_PGM_RSRC2:SCRATCH_EN: 0
; COMPUTE_PGM_RSRC2:USER_SGPR: 6
; COMPUTE_PGM_RSRC2:TRAP_HANDLER: 0
; COMPUTE_PGM_RSRC2:TGID_X_EN: 1
; COMPUTE_PGM_RSRC2:TGID_Y_EN: 0
; COMPUTE_PGM_RSRC2:TGID_Z_EN: 0
; COMPUTE_PGM_RSRC2:TIDIG_COMP_CNT: 0
	.section	.text._Z16warp_load_kernelILj256ELj8ELj32ELN6hipcub17WarpLoadAlgorithmE1EdEvPT3_S3_,"axG",@progbits,_Z16warp_load_kernelILj256ELj8ELj32ELN6hipcub17WarpLoadAlgorithmE1EdEvPT3_S3_,comdat
	.protected	_Z16warp_load_kernelILj256ELj8ELj32ELN6hipcub17WarpLoadAlgorithmE1EdEvPT3_S3_ ; -- Begin function _Z16warp_load_kernelILj256ELj8ELj32ELN6hipcub17WarpLoadAlgorithmE1EdEvPT3_S3_
	.globl	_Z16warp_load_kernelILj256ELj8ELj32ELN6hipcub17WarpLoadAlgorithmE1EdEvPT3_S3_
	.p2align	8
	.type	_Z16warp_load_kernelILj256ELj8ELj32ELN6hipcub17WarpLoadAlgorithmE1EdEvPT3_S3_,@function
_Z16warp_load_kernelILj256ELj8ELj32ELN6hipcub17WarpLoadAlgorithmE1EdEvPT3_S3_: ; @_Z16warp_load_kernelILj256ELj8ELj32ELN6hipcub17WarpLoadAlgorithmE1EdEvPT3_S3_
; %bb.0:
	s_load_dwordx4 s[0:3], s[4:5], 0x0
	v_lshlrev_b32_e32 v1, 3, v0
	s_lshl_b32 s4, s6, 11
	v_mov_b32_e32 v2, 0
	v_mbcnt_lo_u32_b32 v5, -1, 0
	v_and_or_b32 v1, 0x700, v1, s4
	v_mov_b32_e32 v20, v2
	v_mov_b32_e32 v22, v2
	v_mov_b32_e32 v24, v2
	v_lshlrev_b64 v[3:4], 3, v[1:2]
	v_lshlrev_b32_e32 v1, 3, v5
	v_mov_b32_e32 v26, v2
	v_mov_b32_e32 v28, v2
	;; [unrolled: 1-line block ×3, first 2 shown]
	s_waitcnt lgkmcnt(0)
	v_add_co_u32 v3, vcc_lo, s0, v3
	v_add_co_ci_u32_e64 v4, null, s1, v4, vcc_lo
	v_add_co_u32 v3, vcc_lo, v3, v1
	v_add_co_ci_u32_e64 v4, null, 0, v4, vcc_lo
	v_or_b32_e32 v1, s4, v0
	s_clause 0x7
	global_load_dwordx2 v[5:6], v[3:4], off
	global_load_dwordx2 v[7:8], v[3:4], off offset:256
	global_load_dwordx2 v[9:10], v[3:4], off offset:512
	;; [unrolled: 1-line block ×7, first 2 shown]
	v_or_b32_e32 v19, 0x100, v1
	v_or_b32_e32 v21, 0x200, v1
	v_lshlrev_b64 v[31:32], 3, v[1:2]
	v_or_b32_e32 v23, 0x300, v1
	v_or_b32_e32 v25, 0x400, v1
	v_lshlrev_b64 v[19:20], 3, v[19:20]
	v_lshlrev_b64 v[21:22], 3, v[21:22]
	v_or_b32_e32 v27, 0x500, v1
	v_lshlrev_b64 v[23:24], 3, v[23:24]
	v_add_co_u32 v31, vcc_lo, s2, v31
	v_or_b32_e32 v29, 0x600, v1
	v_lshlrev_b64 v[25:26], 3, v[25:26]
	v_add_co_ci_u32_e64 v32, null, s3, v32, vcc_lo
	v_add_co_u32 v19, vcc_lo, s2, v19
	v_or_b32_e32 v1, 0x700, v1
	v_lshlrev_b64 v[27:28], 3, v[27:28]
	v_add_co_ci_u32_e64 v20, null, s3, v20, vcc_lo
	v_add_co_u32 v21, vcc_lo, s2, v21
	v_lshlrev_b64 v[29:30], 3, v[29:30]
	v_add_co_ci_u32_e64 v22, null, s3, v22, vcc_lo
	v_add_co_u32 v23, vcc_lo, s2, v23
	;; [unrolled: 3-line block ×3, first 2 shown]
	v_add_co_ci_u32_e64 v26, null, s3, v26, vcc_lo
	v_add_co_u32 v27, vcc_lo, s2, v27
	v_add_co_ci_u32_e64 v28, null, s3, v28, vcc_lo
	v_add_co_u32 v29, vcc_lo, s2, v29
	;; [unrolled: 2-line block ×3, first 2 shown]
	v_add_co_ci_u32_e64 v1, null, s3, v1, vcc_lo
	s_waitcnt vmcnt(7)
	global_store_dwordx2 v[31:32], v[5:6], off
	s_waitcnt vmcnt(6)
	global_store_dwordx2 v[19:20], v[7:8], off
	;; [unrolled: 2-line block ×8, first 2 shown]
	s_endpgm
	.section	.rodata,"a",@progbits
	.p2align	6, 0x0
	.amdhsa_kernel _Z16warp_load_kernelILj256ELj8ELj32ELN6hipcub17WarpLoadAlgorithmE1EdEvPT3_S3_
		.amdhsa_group_segment_fixed_size 0
		.amdhsa_private_segment_fixed_size 0
		.amdhsa_kernarg_size 16
		.amdhsa_user_sgpr_count 6
		.amdhsa_user_sgpr_private_segment_buffer 1
		.amdhsa_user_sgpr_dispatch_ptr 0
		.amdhsa_user_sgpr_queue_ptr 0
		.amdhsa_user_sgpr_kernarg_segment_ptr 1
		.amdhsa_user_sgpr_dispatch_id 0
		.amdhsa_user_sgpr_flat_scratch_init 0
		.amdhsa_user_sgpr_private_segment_size 0
		.amdhsa_wavefront_size32 1
		.amdhsa_uses_dynamic_stack 0
		.amdhsa_system_sgpr_private_segment_wavefront_offset 0
		.amdhsa_system_sgpr_workgroup_id_x 1
		.amdhsa_system_sgpr_workgroup_id_y 0
		.amdhsa_system_sgpr_workgroup_id_z 0
		.amdhsa_system_sgpr_workgroup_info 0
		.amdhsa_system_vgpr_workitem_id 0
		.amdhsa_next_free_vgpr 33
		.amdhsa_next_free_sgpr 7
		.amdhsa_reserve_vcc 1
		.amdhsa_reserve_flat_scratch 0
		.amdhsa_float_round_mode_32 0
		.amdhsa_float_round_mode_16_64 0
		.amdhsa_float_denorm_mode_32 3
		.amdhsa_float_denorm_mode_16_64 3
		.amdhsa_dx10_clamp 1
		.amdhsa_ieee_mode 1
		.amdhsa_fp16_overflow 0
		.amdhsa_workgroup_processor_mode 1
		.amdhsa_memory_ordered 1
		.amdhsa_forward_progress 1
		.amdhsa_shared_vgpr_count 0
		.amdhsa_exception_fp_ieee_invalid_op 0
		.amdhsa_exception_fp_denorm_src 0
		.amdhsa_exception_fp_ieee_div_zero 0
		.amdhsa_exception_fp_ieee_overflow 0
		.amdhsa_exception_fp_ieee_underflow 0
		.amdhsa_exception_fp_ieee_inexact 0
		.amdhsa_exception_int_div_zero 0
	.end_amdhsa_kernel
	.section	.text._Z16warp_load_kernelILj256ELj8ELj32ELN6hipcub17WarpLoadAlgorithmE1EdEvPT3_S3_,"axG",@progbits,_Z16warp_load_kernelILj256ELj8ELj32ELN6hipcub17WarpLoadAlgorithmE1EdEvPT3_S3_,comdat
.Lfunc_end24:
	.size	_Z16warp_load_kernelILj256ELj8ELj32ELN6hipcub17WarpLoadAlgorithmE1EdEvPT3_S3_, .Lfunc_end24-_Z16warp_load_kernelILj256ELj8ELj32ELN6hipcub17WarpLoadAlgorithmE1EdEvPT3_S3_
                                        ; -- End function
	.set _Z16warp_load_kernelILj256ELj8ELj32ELN6hipcub17WarpLoadAlgorithmE1EdEvPT3_S3_.num_vgpr, 33
	.set _Z16warp_load_kernelILj256ELj8ELj32ELN6hipcub17WarpLoadAlgorithmE1EdEvPT3_S3_.num_agpr, 0
	.set _Z16warp_load_kernelILj256ELj8ELj32ELN6hipcub17WarpLoadAlgorithmE1EdEvPT3_S3_.numbered_sgpr, 7
	.set _Z16warp_load_kernelILj256ELj8ELj32ELN6hipcub17WarpLoadAlgorithmE1EdEvPT3_S3_.num_named_barrier, 0
	.set _Z16warp_load_kernelILj256ELj8ELj32ELN6hipcub17WarpLoadAlgorithmE1EdEvPT3_S3_.private_seg_size, 0
	.set _Z16warp_load_kernelILj256ELj8ELj32ELN6hipcub17WarpLoadAlgorithmE1EdEvPT3_S3_.uses_vcc, 1
	.set _Z16warp_load_kernelILj256ELj8ELj32ELN6hipcub17WarpLoadAlgorithmE1EdEvPT3_S3_.uses_flat_scratch, 0
	.set _Z16warp_load_kernelILj256ELj8ELj32ELN6hipcub17WarpLoadAlgorithmE1EdEvPT3_S3_.has_dyn_sized_stack, 0
	.set _Z16warp_load_kernelILj256ELj8ELj32ELN6hipcub17WarpLoadAlgorithmE1EdEvPT3_S3_.has_recursion, 0
	.set _Z16warp_load_kernelILj256ELj8ELj32ELN6hipcub17WarpLoadAlgorithmE1EdEvPT3_S3_.has_indirect_call, 0
	.section	.AMDGPU.csdata,"",@progbits
; Kernel info:
; codeLenInByte = 532
; TotalNumSgprs: 9
; NumVgprs: 33
; ScratchSize: 0
; MemoryBound: 1
; FloatMode: 240
; IeeeMode: 1
; LDSByteSize: 0 bytes/workgroup (compile time only)
; SGPRBlocks: 0
; VGPRBlocks: 4
; NumSGPRsForWavesPerEU: 9
; NumVGPRsForWavesPerEU: 33
; Occupancy: 16
; WaveLimiterHint : 1
; COMPUTE_PGM_RSRC2:SCRATCH_EN: 0
; COMPUTE_PGM_RSRC2:USER_SGPR: 6
; COMPUTE_PGM_RSRC2:TRAP_HANDLER: 0
; COMPUTE_PGM_RSRC2:TGID_X_EN: 1
; COMPUTE_PGM_RSRC2:TGID_Y_EN: 0
; COMPUTE_PGM_RSRC2:TGID_Z_EN: 0
; COMPUTE_PGM_RSRC2:TIDIG_COMP_CNT: 0
	.section	.text._Z16warp_load_kernelILj256ELj8ELj32ELN6hipcub17WarpLoadAlgorithmE2EdEvPT3_S3_,"axG",@progbits,_Z16warp_load_kernelILj256ELj8ELj32ELN6hipcub17WarpLoadAlgorithmE2EdEvPT3_S3_,comdat
	.protected	_Z16warp_load_kernelILj256ELj8ELj32ELN6hipcub17WarpLoadAlgorithmE2EdEvPT3_S3_ ; -- Begin function _Z16warp_load_kernelILj256ELj8ELj32ELN6hipcub17WarpLoadAlgorithmE2EdEvPT3_S3_
	.globl	_Z16warp_load_kernelILj256ELj8ELj32ELN6hipcub17WarpLoadAlgorithmE2EdEvPT3_S3_
	.p2align	8
	.type	_Z16warp_load_kernelILj256ELj8ELj32ELN6hipcub17WarpLoadAlgorithmE2EdEvPT3_S3_,@function
_Z16warp_load_kernelILj256ELj8ELj32ELN6hipcub17WarpLoadAlgorithmE2EdEvPT3_S3_: ; @_Z16warp_load_kernelILj256ELj8ELj32ELN6hipcub17WarpLoadAlgorithmE2EdEvPT3_S3_
; %bb.0:
	s_load_dwordx4 s[0:3], s[4:5], 0x0
	v_lshlrev_b32_e32 v1, 3, v0
	s_lshl_b32 s4, s6, 11
	v_mov_b32_e32 v18, 0
	v_mbcnt_lo_u32_b32 v3, -1, 0
	v_and_or_b32 v17, 0x700, v1, s4
	v_mov_b32_e32 v20, v18
	v_lshlrev_b32_e32 v3, 6, v3
	v_mov_b32_e32 v22, v18
	v_lshlrev_b64 v[1:2], 3, v[17:18]
	v_or_b32_e32 v17, s4, v0
	v_mov_b32_e32 v24, v18
	v_mov_b32_e32 v26, v18
	;; [unrolled: 1-line block ×4, first 2 shown]
	v_or_b32_e32 v19, 0x100, v17
	v_or_b32_e32 v21, 0x200, v17
	v_lshlrev_b64 v[31:32], 3, v[17:18]
	s_waitcnt lgkmcnt(0)
	v_add_co_u32 v1, vcc_lo, s0, v1
	v_add_co_ci_u32_e64 v2, null, s1, v2, vcc_lo
	v_or_b32_e32 v23, 0x300, v17
	v_add_co_u32 v13, vcc_lo, v1, v3
	v_add_co_ci_u32_e64 v14, null, 0, v2, vcc_lo
	v_lshlrev_b64 v[19:20], 3, v[19:20]
	v_or_b32_e32 v25, 0x400, v17
	v_lshlrev_b64 v[21:22], 3, v[21:22]
	s_clause 0x3
	global_load_dwordx4 v[1:4], v[13:14], off
	global_load_dwordx4 v[5:8], v[13:14], off offset:16
	global_load_dwordx4 v[9:12], v[13:14], off offset:32
	;; [unrolled: 1-line block ×3, first 2 shown]
	v_or_b32_e32 v27, 0x500, v17
	v_lshlrev_b64 v[23:24], 3, v[23:24]
	v_add_co_u32 v31, vcc_lo, s2, v31
	v_or_b32_e32 v29, 0x600, v17
	v_lshlrev_b64 v[25:26], 3, v[25:26]
	v_add_co_ci_u32_e64 v32, null, s3, v32, vcc_lo
	v_add_co_u32 v19, vcc_lo, s2, v19
	v_or_b32_e32 v17, 0x700, v17
	v_lshlrev_b64 v[27:28], 3, v[27:28]
	v_add_co_ci_u32_e64 v20, null, s3, v20, vcc_lo
	v_add_co_u32 v21, vcc_lo, s2, v21
	v_lshlrev_b64 v[29:30], 3, v[29:30]
	v_add_co_ci_u32_e64 v22, null, s3, v22, vcc_lo
	v_add_co_u32 v23, vcc_lo, s2, v23
	;; [unrolled: 3-line block ×3, first 2 shown]
	v_add_co_ci_u32_e64 v26, null, s3, v26, vcc_lo
	v_add_co_u32 v27, vcc_lo, s2, v27
	v_add_co_ci_u32_e64 v28, null, s3, v28, vcc_lo
	v_add_co_u32 v29, vcc_lo, s2, v29
	;; [unrolled: 2-line block ×3, first 2 shown]
	v_add_co_ci_u32_e64 v18, null, s3, v18, vcc_lo
	s_waitcnt vmcnt(3)
	global_store_dwordx2 v[31:32], v[1:2], off
	global_store_dwordx2 v[19:20], v[3:4], off
	s_waitcnt vmcnt(2)
	global_store_dwordx2 v[21:22], v[5:6], off
	global_store_dwordx2 v[23:24], v[7:8], off
	;; [unrolled: 3-line block ×4, first 2 shown]
	s_endpgm
	.section	.rodata,"a",@progbits
	.p2align	6, 0x0
	.amdhsa_kernel _Z16warp_load_kernelILj256ELj8ELj32ELN6hipcub17WarpLoadAlgorithmE2EdEvPT3_S3_
		.amdhsa_group_segment_fixed_size 0
		.amdhsa_private_segment_fixed_size 0
		.amdhsa_kernarg_size 16
		.amdhsa_user_sgpr_count 6
		.amdhsa_user_sgpr_private_segment_buffer 1
		.amdhsa_user_sgpr_dispatch_ptr 0
		.amdhsa_user_sgpr_queue_ptr 0
		.amdhsa_user_sgpr_kernarg_segment_ptr 1
		.amdhsa_user_sgpr_dispatch_id 0
		.amdhsa_user_sgpr_flat_scratch_init 0
		.amdhsa_user_sgpr_private_segment_size 0
		.amdhsa_wavefront_size32 1
		.amdhsa_uses_dynamic_stack 0
		.amdhsa_system_sgpr_private_segment_wavefront_offset 0
		.amdhsa_system_sgpr_workgroup_id_x 1
		.amdhsa_system_sgpr_workgroup_id_y 0
		.amdhsa_system_sgpr_workgroup_id_z 0
		.amdhsa_system_sgpr_workgroup_info 0
		.amdhsa_system_vgpr_workitem_id 0
		.amdhsa_next_free_vgpr 33
		.amdhsa_next_free_sgpr 7
		.amdhsa_reserve_vcc 1
		.amdhsa_reserve_flat_scratch 0
		.amdhsa_float_round_mode_32 0
		.amdhsa_float_round_mode_16_64 0
		.amdhsa_float_denorm_mode_32 3
		.amdhsa_float_denorm_mode_16_64 3
		.amdhsa_dx10_clamp 1
		.amdhsa_ieee_mode 1
		.amdhsa_fp16_overflow 0
		.amdhsa_workgroup_processor_mode 1
		.amdhsa_memory_ordered 1
		.amdhsa_forward_progress 1
		.amdhsa_shared_vgpr_count 0
		.amdhsa_exception_fp_ieee_invalid_op 0
		.amdhsa_exception_fp_denorm_src 0
		.amdhsa_exception_fp_ieee_div_zero 0
		.amdhsa_exception_fp_ieee_overflow 0
		.amdhsa_exception_fp_ieee_underflow 0
		.amdhsa_exception_fp_ieee_inexact 0
		.amdhsa_exception_int_div_zero 0
	.end_amdhsa_kernel
	.section	.text._Z16warp_load_kernelILj256ELj8ELj32ELN6hipcub17WarpLoadAlgorithmE2EdEvPT3_S3_,"axG",@progbits,_Z16warp_load_kernelILj256ELj8ELj32ELN6hipcub17WarpLoadAlgorithmE2EdEvPT3_S3_,comdat
.Lfunc_end25:
	.size	_Z16warp_load_kernelILj256ELj8ELj32ELN6hipcub17WarpLoadAlgorithmE2EdEvPT3_S3_, .Lfunc_end25-_Z16warp_load_kernelILj256ELj8ELj32ELN6hipcub17WarpLoadAlgorithmE2EdEvPT3_S3_
                                        ; -- End function
	.set _Z16warp_load_kernelILj256ELj8ELj32ELN6hipcub17WarpLoadAlgorithmE2EdEvPT3_S3_.num_vgpr, 33
	.set _Z16warp_load_kernelILj256ELj8ELj32ELN6hipcub17WarpLoadAlgorithmE2EdEvPT3_S3_.num_agpr, 0
	.set _Z16warp_load_kernelILj256ELj8ELj32ELN6hipcub17WarpLoadAlgorithmE2EdEvPT3_S3_.numbered_sgpr, 7
	.set _Z16warp_load_kernelILj256ELj8ELj32ELN6hipcub17WarpLoadAlgorithmE2EdEvPT3_S3_.num_named_barrier, 0
	.set _Z16warp_load_kernelILj256ELj8ELj32ELN6hipcub17WarpLoadAlgorithmE2EdEvPT3_S3_.private_seg_size, 0
	.set _Z16warp_load_kernelILj256ELj8ELj32ELN6hipcub17WarpLoadAlgorithmE2EdEvPT3_S3_.uses_vcc, 1
	.set _Z16warp_load_kernelILj256ELj8ELj32ELN6hipcub17WarpLoadAlgorithmE2EdEvPT3_S3_.uses_flat_scratch, 0
	.set _Z16warp_load_kernelILj256ELj8ELj32ELN6hipcub17WarpLoadAlgorithmE2EdEvPT3_S3_.has_dyn_sized_stack, 0
	.set _Z16warp_load_kernelILj256ELj8ELj32ELN6hipcub17WarpLoadAlgorithmE2EdEvPT3_S3_.has_recursion, 0
	.set _Z16warp_load_kernelILj256ELj8ELj32ELN6hipcub17WarpLoadAlgorithmE2EdEvPT3_S3_.has_indirect_call, 0
	.section	.AMDGPU.csdata,"",@progbits
; Kernel info:
; codeLenInByte = 484
; TotalNumSgprs: 9
; NumVgprs: 33
; ScratchSize: 0
; MemoryBound: 0
; FloatMode: 240
; IeeeMode: 1
; LDSByteSize: 0 bytes/workgroup (compile time only)
; SGPRBlocks: 0
; VGPRBlocks: 4
; NumSGPRsForWavesPerEU: 9
; NumVGPRsForWavesPerEU: 33
; Occupancy: 16
; WaveLimiterHint : 0
; COMPUTE_PGM_RSRC2:SCRATCH_EN: 0
; COMPUTE_PGM_RSRC2:USER_SGPR: 6
; COMPUTE_PGM_RSRC2:TRAP_HANDLER: 0
; COMPUTE_PGM_RSRC2:TGID_X_EN: 1
; COMPUTE_PGM_RSRC2:TGID_Y_EN: 0
; COMPUTE_PGM_RSRC2:TGID_Z_EN: 0
; COMPUTE_PGM_RSRC2:TIDIG_COMP_CNT: 0
	.section	.text._Z16warp_load_kernelILj256ELj8ELj32ELN6hipcub17WarpLoadAlgorithmE3EdEvPT3_S3_,"axG",@progbits,_Z16warp_load_kernelILj256ELj8ELj32ELN6hipcub17WarpLoadAlgorithmE3EdEvPT3_S3_,comdat
	.protected	_Z16warp_load_kernelILj256ELj8ELj32ELN6hipcub17WarpLoadAlgorithmE3EdEvPT3_S3_ ; -- Begin function _Z16warp_load_kernelILj256ELj8ELj32ELN6hipcub17WarpLoadAlgorithmE3EdEvPT3_S3_
	.globl	_Z16warp_load_kernelILj256ELj8ELj32ELN6hipcub17WarpLoadAlgorithmE3EdEvPT3_S3_
	.p2align	8
	.type	_Z16warp_load_kernelILj256ELj8ELj32ELN6hipcub17WarpLoadAlgorithmE3EdEvPT3_S3_,@function
_Z16warp_load_kernelILj256ELj8ELj32ELN6hipcub17WarpLoadAlgorithmE3EdEvPT3_S3_: ; @_Z16warp_load_kernelILj256ELj8ELj32ELN6hipcub17WarpLoadAlgorithmE3EdEvPT3_S3_
; %bb.0:
	s_load_dwordx4 s[0:3], s[4:5], 0x0
	v_lshrrev_b32_e32 v19, 5, v0
	s_lshl_b32 s4, s6, 11
	v_mov_b32_e32 v2, 0
	v_mbcnt_lo_u32_b32 v21, -1, 0
	v_lshl_or_b32 v1, v19, 8, s4
	v_lshlrev_b32_e32 v19, 11, v19
	v_mov_b32_e32 v20, v2
	v_lshlrev_b32_e32 v23, 3, v21
	v_mov_b32_e32 v22, v2
	v_lshlrev_b64 v[3:4], 3, v[1:2]
	v_lshl_or_b32 v35, v21, 6, v19
	v_mov_b32_e32 v24, v2
	v_mov_b32_e32 v26, v2
	;; [unrolled: 1-line block ×4, first 2 shown]
	s_waitcnt lgkmcnt(0)
	v_add_co_u32 v1, vcc_lo, s0, v3
	v_add_co_ci_u32_e64 v4, null, s1, v4, vcc_lo
	v_add_co_u32 v3, vcc_lo, v1, v23
	v_add_co_ci_u32_e64 v4, null, 0, v4, vcc_lo
	v_or_b32_e32 v1, s4, v0
	v_or_b32_e32 v0, v19, v23
	s_clause 0x7
	global_load_dwordx2 v[5:6], v[3:4], off
	global_load_dwordx2 v[7:8], v[3:4], off offset:256
	global_load_dwordx2 v[9:10], v[3:4], off offset:512
	;; [unrolled: 1-line block ×7, first 2 shown]
	s_waitcnt vmcnt(6)
	ds_write2_b64 v0, v[5:6], v[7:8] offset1:32
	s_waitcnt vmcnt(4)
	ds_write2_b64 v0, v[9:10], v[11:12] offset0:64 offset1:96
	s_waitcnt vmcnt(2)
	ds_write2_b64 v0, v[13:14], v[15:16] offset0:128 offset1:160
	;; [unrolled: 2-line block ×3, first 2 shown]
	v_lshlrev_b64 v[31:32], 3, v[1:2]
	v_or_b32_e32 v19, 0x100, v1
	v_or_b32_e32 v21, 0x200, v1
	v_or_b32_e32 v23, 0x300, v1
	v_or_b32_e32 v25, 0x400, v1
	v_or_b32_e32 v27, 0x500, v1
	v_or_b32_e32 v29, 0x600, v1
	v_or_b32_e32 v1, 0x700, v1
	v_lshlrev_b64 v[19:20], 3, v[19:20]
	; wave barrier
	v_lshlrev_b64 v[21:22], 3, v[21:22]
	v_lshlrev_b64 v[33:34], 3, v[1:2]
	ds_read_b128 v[0:3], v35
	ds_read_b128 v[4:7], v35 offset:16
	ds_read_b128 v[8:11], v35 offset:32
	;; [unrolled: 1-line block ×3, first 2 shown]
	v_lshlrev_b64 v[23:24], 3, v[23:24]
	v_add_co_u32 v31, vcc_lo, s2, v31
	v_lshlrev_b64 v[25:26], 3, v[25:26]
	v_add_co_ci_u32_e64 v32, null, s3, v32, vcc_lo
	v_add_co_u32 v19, vcc_lo, s2, v19
	v_lshlrev_b64 v[27:28], 3, v[27:28]
	v_add_co_ci_u32_e64 v20, null, s3, v20, vcc_lo
	;; [unrolled: 3-line block ×3, first 2 shown]
	v_add_co_u32 v23, vcc_lo, s2, v23
	v_add_co_ci_u32_e64 v24, null, s3, v24, vcc_lo
	v_add_co_u32 v16, vcc_lo, s2, v25
	v_add_co_ci_u32_e64 v17, null, s3, v26, vcc_lo
	;; [unrolled: 2-line block ×5, first 2 shown]
	s_waitcnt lgkmcnt(3)
	global_store_dwordx2 v[31:32], v[0:1], off
	global_store_dwordx2 v[19:20], v[2:3], off
	s_waitcnt lgkmcnt(2)
	global_store_dwordx2 v[21:22], v[4:5], off
	global_store_dwordx2 v[23:24], v[6:7], off
	s_waitcnt lgkmcnt(1)
	global_store_dwordx2 v[16:17], v[8:9], off
	global_store_dwordx2 v[25:26], v[10:11], off
	s_waitcnt lgkmcnt(0)
	global_store_dwordx2 v[27:28], v[12:13], off
	global_store_dwordx2 v[29:30], v[14:15], off
	s_endpgm
	.section	.rodata,"a",@progbits
	.p2align	6, 0x0
	.amdhsa_kernel _Z16warp_load_kernelILj256ELj8ELj32ELN6hipcub17WarpLoadAlgorithmE3EdEvPT3_S3_
		.amdhsa_group_segment_fixed_size 16384
		.amdhsa_private_segment_fixed_size 0
		.amdhsa_kernarg_size 16
		.amdhsa_user_sgpr_count 6
		.amdhsa_user_sgpr_private_segment_buffer 1
		.amdhsa_user_sgpr_dispatch_ptr 0
		.amdhsa_user_sgpr_queue_ptr 0
		.amdhsa_user_sgpr_kernarg_segment_ptr 1
		.amdhsa_user_sgpr_dispatch_id 0
		.amdhsa_user_sgpr_flat_scratch_init 0
		.amdhsa_user_sgpr_private_segment_size 0
		.amdhsa_wavefront_size32 1
		.amdhsa_uses_dynamic_stack 0
		.amdhsa_system_sgpr_private_segment_wavefront_offset 0
		.amdhsa_system_sgpr_workgroup_id_x 1
		.amdhsa_system_sgpr_workgroup_id_y 0
		.amdhsa_system_sgpr_workgroup_id_z 0
		.amdhsa_system_sgpr_workgroup_info 0
		.amdhsa_system_vgpr_workitem_id 0
		.amdhsa_next_free_vgpr 36
		.amdhsa_next_free_sgpr 7
		.amdhsa_reserve_vcc 1
		.amdhsa_reserve_flat_scratch 0
		.amdhsa_float_round_mode_32 0
		.amdhsa_float_round_mode_16_64 0
		.amdhsa_float_denorm_mode_32 3
		.amdhsa_float_denorm_mode_16_64 3
		.amdhsa_dx10_clamp 1
		.amdhsa_ieee_mode 1
		.amdhsa_fp16_overflow 0
		.amdhsa_workgroup_processor_mode 1
		.amdhsa_memory_ordered 1
		.amdhsa_forward_progress 1
		.amdhsa_shared_vgpr_count 0
		.amdhsa_exception_fp_ieee_invalid_op 0
		.amdhsa_exception_fp_denorm_src 0
		.amdhsa_exception_fp_ieee_div_zero 0
		.amdhsa_exception_fp_ieee_overflow 0
		.amdhsa_exception_fp_ieee_underflow 0
		.amdhsa_exception_fp_ieee_inexact 0
		.amdhsa_exception_int_div_zero 0
	.end_amdhsa_kernel
	.section	.text._Z16warp_load_kernelILj256ELj8ELj32ELN6hipcub17WarpLoadAlgorithmE3EdEvPT3_S3_,"axG",@progbits,_Z16warp_load_kernelILj256ELj8ELj32ELN6hipcub17WarpLoadAlgorithmE3EdEvPT3_S3_,comdat
.Lfunc_end26:
	.size	_Z16warp_load_kernelILj256ELj8ELj32ELN6hipcub17WarpLoadAlgorithmE3EdEvPT3_S3_, .Lfunc_end26-_Z16warp_load_kernelILj256ELj8ELj32ELN6hipcub17WarpLoadAlgorithmE3EdEvPT3_S3_
                                        ; -- End function
	.set _Z16warp_load_kernelILj256ELj8ELj32ELN6hipcub17WarpLoadAlgorithmE3EdEvPT3_S3_.num_vgpr, 36
	.set _Z16warp_load_kernelILj256ELj8ELj32ELN6hipcub17WarpLoadAlgorithmE3EdEvPT3_S3_.num_agpr, 0
	.set _Z16warp_load_kernelILj256ELj8ELj32ELN6hipcub17WarpLoadAlgorithmE3EdEvPT3_S3_.numbered_sgpr, 7
	.set _Z16warp_load_kernelILj256ELj8ELj32ELN6hipcub17WarpLoadAlgorithmE3EdEvPT3_S3_.num_named_barrier, 0
	.set _Z16warp_load_kernelILj256ELj8ELj32ELN6hipcub17WarpLoadAlgorithmE3EdEvPT3_S3_.private_seg_size, 0
	.set _Z16warp_load_kernelILj256ELj8ELj32ELN6hipcub17WarpLoadAlgorithmE3EdEvPT3_S3_.uses_vcc, 1
	.set _Z16warp_load_kernelILj256ELj8ELj32ELN6hipcub17WarpLoadAlgorithmE3EdEvPT3_S3_.uses_flat_scratch, 0
	.set _Z16warp_load_kernelILj256ELj8ELj32ELN6hipcub17WarpLoadAlgorithmE3EdEvPT3_S3_.has_dyn_sized_stack, 0
	.set _Z16warp_load_kernelILj256ELj8ELj32ELN6hipcub17WarpLoadAlgorithmE3EdEvPT3_S3_.has_recursion, 0
	.set _Z16warp_load_kernelILj256ELj8ELj32ELN6hipcub17WarpLoadAlgorithmE3EdEvPT3_S3_.has_indirect_call, 0
	.section	.AMDGPU.csdata,"",@progbits
; Kernel info:
; codeLenInByte = 608
; TotalNumSgprs: 9
; NumVgprs: 36
; ScratchSize: 0
; MemoryBound: 1
; FloatMode: 240
; IeeeMode: 1
; LDSByteSize: 16384 bytes/workgroup (compile time only)
; SGPRBlocks: 0
; VGPRBlocks: 4
; NumSGPRsForWavesPerEU: 9
; NumVGPRsForWavesPerEU: 36
; Occupancy: 16
; WaveLimiterHint : 1
; COMPUTE_PGM_RSRC2:SCRATCH_EN: 0
; COMPUTE_PGM_RSRC2:USER_SGPR: 6
; COMPUTE_PGM_RSRC2:TRAP_HANDLER: 0
; COMPUTE_PGM_RSRC2:TGID_X_EN: 1
; COMPUTE_PGM_RSRC2:TGID_Y_EN: 0
; COMPUTE_PGM_RSRC2:TGID_Z_EN: 0
; COMPUTE_PGM_RSRC2:TIDIG_COMP_CNT: 0
	.section	.text._Z16warp_load_kernelILj256ELj16ELj32ELN6hipcub17WarpLoadAlgorithmE0EdEvPT3_S3_,"axG",@progbits,_Z16warp_load_kernelILj256ELj16ELj32ELN6hipcub17WarpLoadAlgorithmE0EdEvPT3_S3_,comdat
	.protected	_Z16warp_load_kernelILj256ELj16ELj32ELN6hipcub17WarpLoadAlgorithmE0EdEvPT3_S3_ ; -- Begin function _Z16warp_load_kernelILj256ELj16ELj32ELN6hipcub17WarpLoadAlgorithmE0EdEvPT3_S3_
	.globl	_Z16warp_load_kernelILj256ELj16ELj32ELN6hipcub17WarpLoadAlgorithmE0EdEvPT3_S3_
	.p2align	8
	.type	_Z16warp_load_kernelILj256ELj16ELj32ELN6hipcub17WarpLoadAlgorithmE0EdEvPT3_S3_,@function
_Z16warp_load_kernelILj256ELj16ELj32ELN6hipcub17WarpLoadAlgorithmE0EdEvPT3_S3_: ; @_Z16warp_load_kernelILj256ELj16ELj32ELN6hipcub17WarpLoadAlgorithmE0EdEvPT3_S3_
; %bb.0:
	s_load_dwordx4 s[0:3], s[4:5], 0x0
	v_lshlrev_b32_e32 v1, 4, v0
	s_lshl_b32 s4, s6, 12
	v_mov_b32_e32 v34, 0
	v_mbcnt_lo_u32_b32 v3, -1, 0
	v_and_or_b32 v33, 0xe00, v1, s4
	v_mov_b32_e32 v36, v34
	v_lshlrev_b32_e32 v3, 7, v3
	v_mov_b32_e32 v37, v34
	v_lshlrev_b64 v[1:2], 3, v[33:34]
	v_or_b32_e32 v33, s4, v0
	v_mov_b32_e32 v39, v34
	v_mov_b32_e32 v41, v34
	;; [unrolled: 1-line block ×4, first 2 shown]
	v_or_b32_e32 v35, 0x100, v33
	v_lshlrev_b64 v[48:49], 3, v[33:34]
	v_or_b32_e32 v38, 0x300, v33
	s_waitcnt lgkmcnt(0)
	v_add_co_u32 v1, vcc_lo, s0, v1
	v_add_co_ci_u32_e64 v2, null, s1, v2, vcc_lo
	v_lshlrev_b64 v[35:36], 3, v[35:36]
	v_add_co_u32 v29, vcc_lo, v1, v3
	v_add_co_ci_u32_e64 v30, null, 0, v2, vcc_lo
	v_add_co_u32 v48, vcc_lo, s2, v48
	v_add_co_ci_u32_e64 v49, null, s3, v49, vcc_lo
	s_clause 0x7
	global_load_dwordx4 v[1:4], v[29:30], off
	global_load_dwordx4 v[5:8], v[29:30], off offset:16
	global_load_dwordx4 v[9:12], v[29:30], off offset:32
	;; [unrolled: 1-line block ×7, first 2 shown]
	v_add_co_u32 v35, vcc_lo, s2, v35
	v_add_co_ci_u32_e64 v36, null, s3, v36, vcc_lo
	v_or_b32_e32 v40, 0x400, v33
	v_or_b32_e32 v42, 0x500, v33
	;; [unrolled: 1-line block ×3, first 2 shown]
	v_mov_b32_e32 v47, v34
	v_or_b32_e32 v46, 0x700, v33
	v_mov_b32_e32 v50, v34
	v_mov_b32_e32 v52, v34
	v_or_b32_e32 v51, 0x900, v33
	v_mov_b32_e32 v54, v34
	v_or_b32_e32 v53, 0xa00, v33
	;; [unrolled: 2-line block ×4, first 2 shown]
	v_or_b32_e32 v0, 0xd00, v33
	s_waitcnt vmcnt(7)
	global_store_dwordx2 v[35:36], v[3:4], off
	v_or_b32_e32 v36, 0x200, v33
	global_store_dwordx2 v[48:49], v[1:2], off
	v_or_b32_e32 v49, 0x800, v33
	v_mov_b32_e32 v1, v34
	v_mov_b32_e32 v3, v34
	v_lshlrev_b64 v[35:36], 3, v[36:37]
	v_lshlrev_b64 v[37:38], 3, v[38:39]
	;; [unrolled: 1-line block ×6, first 2 shown]
	v_add_co_u32 v35, vcc_lo, s2, v35
	v_add_co_ci_u32_e64 v36, null, s3, v36, vcc_lo
	v_add_co_u32 v37, vcc_lo, s2, v37
	v_add_co_ci_u32_e64 v38, null, s3, v38, vcc_lo
	v_add_co_u32 v39, vcc_lo, s2, v39
	v_lshlrev_b64 v[47:48], 3, v[49:50]
	v_add_co_ci_u32_e64 v40, null, s3, v40, vcc_lo
	v_add_co_u32 v41, vcc_lo, s2, v41
	v_lshlrev_b64 v[49:50], 3, v[51:52]
	v_add_co_ci_u32_e64 v42, null, s3, v42, vcc_lo
	v_add_co_u32 v43, vcc_lo, s2, v43
	v_lshlrev_b64 v[51:52], 3, v[53:54]
	v_add_co_ci_u32_e64 v44, null, s3, v44, vcc_lo
	v_add_co_u32 v45, vcc_lo, s2, v45
	v_lshlrev_b64 v[53:54], 3, v[55:56]
	v_add_co_ci_u32_e64 v46, null, s3, v46, vcc_lo
	v_add_co_u32 v47, vcc_lo, s2, v47
	v_or_b32_e32 v2, 0xe00, v33
	v_lshlrev_b64 v[55:56], 3, v[57:58]
	v_add_co_ci_u32_e64 v48, null, s3, v48, vcc_lo
	v_add_co_u32 v49, vcc_lo, s2, v49
	v_or_b32_e32 v33, 0xf00, v33
	v_lshlrev_b64 v[0:1], 3, v[0:1]
	v_add_co_ci_u32_e64 v50, null, s3, v50, vcc_lo
	v_add_co_u32 v51, vcc_lo, s2, v51
	v_lshlrev_b64 v[2:3], 3, v[2:3]
	v_add_co_ci_u32_e64 v52, null, s3, v52, vcc_lo
	v_add_co_u32 v53, vcc_lo, s2, v53
	;; [unrolled: 3-line block ×3, first 2 shown]
	v_add_co_ci_u32_e64 v56, null, s3, v56, vcc_lo
	v_add_co_u32 v0, vcc_lo, s2, v0
	v_add_co_ci_u32_e64 v1, null, s3, v1, vcc_lo
	v_add_co_u32 v2, vcc_lo, s2, v2
	;; [unrolled: 2-line block ×3, first 2 shown]
	v_add_co_ci_u32_e64 v34, null, s3, v34, vcc_lo
	s_waitcnt vmcnt(6)
	global_store_dwordx2 v[35:36], v[5:6], off
	global_store_dwordx2 v[37:38], v[7:8], off
	s_waitcnt vmcnt(5)
	global_store_dwordx2 v[39:40], v[9:10], off
	global_store_dwordx2 v[41:42], v[11:12], off
	s_waitcnt vmcnt(4)
	global_store_dwordx2 v[43:44], v[13:14], off
	global_store_dwordx2 v[45:46], v[15:16], off
	s_waitcnt vmcnt(3)
	global_store_dwordx2 v[47:48], v[17:18], off
	global_store_dwordx2 v[49:50], v[19:20], off
	s_waitcnt vmcnt(2)
	global_store_dwordx2 v[51:52], v[21:22], off
	global_store_dwordx2 v[53:54], v[23:24], off
	s_waitcnt vmcnt(1)
	global_store_dwordx2 v[55:56], v[25:26], off
	global_store_dwordx2 v[0:1], v[27:28], off
	s_waitcnt vmcnt(0)
	global_store_dwordx2 v[2:3], v[29:30], off
	global_store_dwordx2 v[33:34], v[31:32], off
	s_endpgm
	.section	.rodata,"a",@progbits
	.p2align	6, 0x0
	.amdhsa_kernel _Z16warp_load_kernelILj256ELj16ELj32ELN6hipcub17WarpLoadAlgorithmE0EdEvPT3_S3_
		.amdhsa_group_segment_fixed_size 0
		.amdhsa_private_segment_fixed_size 0
		.amdhsa_kernarg_size 16
		.amdhsa_user_sgpr_count 6
		.amdhsa_user_sgpr_private_segment_buffer 1
		.amdhsa_user_sgpr_dispatch_ptr 0
		.amdhsa_user_sgpr_queue_ptr 0
		.amdhsa_user_sgpr_kernarg_segment_ptr 1
		.amdhsa_user_sgpr_dispatch_id 0
		.amdhsa_user_sgpr_flat_scratch_init 0
		.amdhsa_user_sgpr_private_segment_size 0
		.amdhsa_wavefront_size32 1
		.amdhsa_uses_dynamic_stack 0
		.amdhsa_system_sgpr_private_segment_wavefront_offset 0
		.amdhsa_system_sgpr_workgroup_id_x 1
		.amdhsa_system_sgpr_workgroup_id_y 0
		.amdhsa_system_sgpr_workgroup_id_z 0
		.amdhsa_system_sgpr_workgroup_info 0
		.amdhsa_system_vgpr_workitem_id 0
		.amdhsa_next_free_vgpr 59
		.amdhsa_next_free_sgpr 7
		.amdhsa_reserve_vcc 1
		.amdhsa_reserve_flat_scratch 0
		.amdhsa_float_round_mode_32 0
		.amdhsa_float_round_mode_16_64 0
		.amdhsa_float_denorm_mode_32 3
		.amdhsa_float_denorm_mode_16_64 3
		.amdhsa_dx10_clamp 1
		.amdhsa_ieee_mode 1
		.amdhsa_fp16_overflow 0
		.amdhsa_workgroup_processor_mode 1
		.amdhsa_memory_ordered 1
		.amdhsa_forward_progress 1
		.amdhsa_shared_vgpr_count 0
		.amdhsa_exception_fp_ieee_invalid_op 0
		.amdhsa_exception_fp_denorm_src 0
		.amdhsa_exception_fp_ieee_div_zero 0
		.amdhsa_exception_fp_ieee_overflow 0
		.amdhsa_exception_fp_ieee_underflow 0
		.amdhsa_exception_fp_ieee_inexact 0
		.amdhsa_exception_int_div_zero 0
	.end_amdhsa_kernel
	.section	.text._Z16warp_load_kernelILj256ELj16ELj32ELN6hipcub17WarpLoadAlgorithmE0EdEvPT3_S3_,"axG",@progbits,_Z16warp_load_kernelILj256ELj16ELj32ELN6hipcub17WarpLoadAlgorithmE0EdEvPT3_S3_,comdat
.Lfunc_end27:
	.size	_Z16warp_load_kernelILj256ELj16ELj32ELN6hipcub17WarpLoadAlgorithmE0EdEvPT3_S3_, .Lfunc_end27-_Z16warp_load_kernelILj256ELj16ELj32ELN6hipcub17WarpLoadAlgorithmE0EdEvPT3_S3_
                                        ; -- End function
	.set _Z16warp_load_kernelILj256ELj16ELj32ELN6hipcub17WarpLoadAlgorithmE0EdEvPT3_S3_.num_vgpr, 59
	.set _Z16warp_load_kernelILj256ELj16ELj32ELN6hipcub17WarpLoadAlgorithmE0EdEvPT3_S3_.num_agpr, 0
	.set _Z16warp_load_kernelILj256ELj16ELj32ELN6hipcub17WarpLoadAlgorithmE0EdEvPT3_S3_.numbered_sgpr, 7
	.set _Z16warp_load_kernelILj256ELj16ELj32ELN6hipcub17WarpLoadAlgorithmE0EdEvPT3_S3_.num_named_barrier, 0
	.set _Z16warp_load_kernelILj256ELj16ELj32ELN6hipcub17WarpLoadAlgorithmE0EdEvPT3_S3_.private_seg_size, 0
	.set _Z16warp_load_kernelILj256ELj16ELj32ELN6hipcub17WarpLoadAlgorithmE0EdEvPT3_S3_.uses_vcc, 1
	.set _Z16warp_load_kernelILj256ELj16ELj32ELN6hipcub17WarpLoadAlgorithmE0EdEvPT3_S3_.uses_flat_scratch, 0
	.set _Z16warp_load_kernelILj256ELj16ELj32ELN6hipcub17WarpLoadAlgorithmE0EdEvPT3_S3_.has_dyn_sized_stack, 0
	.set _Z16warp_load_kernelILj256ELj16ELj32ELN6hipcub17WarpLoadAlgorithmE0EdEvPT3_S3_.has_recursion, 0
	.set _Z16warp_load_kernelILj256ELj16ELj32ELN6hipcub17WarpLoadAlgorithmE0EdEvPT3_S3_.has_indirect_call, 0
	.section	.AMDGPU.csdata,"",@progbits
; Kernel info:
; codeLenInByte = 884
; TotalNumSgprs: 9
; NumVgprs: 59
; ScratchSize: 0
; MemoryBound: 0
; FloatMode: 240
; IeeeMode: 1
; LDSByteSize: 0 bytes/workgroup (compile time only)
; SGPRBlocks: 0
; VGPRBlocks: 7
; NumSGPRsForWavesPerEU: 9
; NumVGPRsForWavesPerEU: 59
; Occupancy: 16
; WaveLimiterHint : 0
; COMPUTE_PGM_RSRC2:SCRATCH_EN: 0
; COMPUTE_PGM_RSRC2:USER_SGPR: 6
; COMPUTE_PGM_RSRC2:TRAP_HANDLER: 0
; COMPUTE_PGM_RSRC2:TGID_X_EN: 1
; COMPUTE_PGM_RSRC2:TGID_Y_EN: 0
; COMPUTE_PGM_RSRC2:TGID_Z_EN: 0
; COMPUTE_PGM_RSRC2:TIDIG_COMP_CNT: 0
	.section	.text._Z16warp_load_kernelILj256ELj16ELj32ELN6hipcub17WarpLoadAlgorithmE1EdEvPT3_S3_,"axG",@progbits,_Z16warp_load_kernelILj256ELj16ELj32ELN6hipcub17WarpLoadAlgorithmE1EdEvPT3_S3_,comdat
	.protected	_Z16warp_load_kernelILj256ELj16ELj32ELN6hipcub17WarpLoadAlgorithmE1EdEvPT3_S3_ ; -- Begin function _Z16warp_load_kernelILj256ELj16ELj32ELN6hipcub17WarpLoadAlgorithmE1EdEvPT3_S3_
	.globl	_Z16warp_load_kernelILj256ELj16ELj32ELN6hipcub17WarpLoadAlgorithmE1EdEvPT3_S3_
	.p2align	8
	.type	_Z16warp_load_kernelILj256ELj16ELj32ELN6hipcub17WarpLoadAlgorithmE1EdEvPT3_S3_,@function
_Z16warp_load_kernelILj256ELj16ELj32ELN6hipcub17WarpLoadAlgorithmE1EdEvPT3_S3_: ; @_Z16warp_load_kernelILj256ELj16ELj32ELN6hipcub17WarpLoadAlgorithmE1EdEvPT3_S3_
; %bb.0:
	s_load_dwordx4 s[0:3], s[4:5], 0x0
	v_lshlrev_b32_e32 v1, 4, v0
	s_lshl_b32 s4, s6, 12
	v_mov_b32_e32 v2, 0
	v_mbcnt_lo_u32_b32 v5, -1, 0
	v_and_or_b32 v1, 0xe00, v1, s4
	v_mov_b32_e32 v36, v2
	v_mov_b32_e32 v38, v2
	;; [unrolled: 1-line block ×3, first 2 shown]
	v_lshlrev_b64 v[3:4], 3, v[1:2]
	v_lshlrev_b32_e32 v1, 3, v5
	v_mov_b32_e32 v42, v2
	v_mov_b32_e32 v45, v2
	;; [unrolled: 1-line block ×7, first 2 shown]
	s_waitcnt lgkmcnt(0)
	v_add_co_u32 v3, vcc_lo, s0, v3
	v_add_co_ci_u32_e64 v4, null, s1, v4, vcc_lo
	v_mov_b32_e32 v57, v2
	v_add_co_u32 v3, vcc_lo, v3, v1
	v_add_co_ci_u32_e64 v4, null, 0, v4, vcc_lo
	v_or_b32_e32 v1, s4, v0
	v_add_co_u32 v13, vcc_lo, 0x800, v3
	s_clause 0x3
	global_load_dwordx2 v[5:6], v[3:4], off
	global_load_dwordx2 v[7:8], v[3:4], off offset:256
	global_load_dwordx2 v[9:10], v[3:4], off offset:512
	;; [unrolled: 1-line block ×3, first 2 shown]
	v_add_co_ci_u32_e64 v14, null, 0, v4, vcc_lo
	s_clause 0xb
	global_load_dwordx2 v[15:16], v[3:4], off offset:1024
	global_load_dwordx2 v[17:18], v[3:4], off offset:1280
	;; [unrolled: 1-line block ×4, first 2 shown]
	global_load_dwordx2 v[21:22], v[13:14], off
	global_load_dwordx2 v[23:24], v[13:14], off offset:256
	global_load_dwordx2 v[25:26], v[13:14], off offset:512
	;; [unrolled: 1-line block ×7, first 2 shown]
	v_lshlrev_b64 v[43:44], 3, v[1:2]
	v_or_b32_e32 v35, 0x100, v1
	v_or_b32_e32 v37, 0x200, v1
	v_or_b32_e32 v39, 0x300, v1
	v_or_b32_e32 v41, 0x400, v1
	v_or_b32_e32 v46, 0x600, v1
	v_add_co_u32 v43, vcc_lo, s2, v43
	v_add_co_ci_u32_e64 v44, null, s3, v44, vcc_lo
	v_lshlrev_b64 v[35:36], 3, v[35:36]
	v_lshlrev_b64 v[37:38], 3, v[37:38]
	;; [unrolled: 1-line block ×4, first 2 shown]
	v_or_b32_e32 v48, 0x700, v1
	v_or_b32_e32 v50, 0x800, v1
	v_add_co_u32 v35, vcc_lo, s2, v35
	v_add_co_ci_u32_e64 v36, null, s3, v36, vcc_lo
	v_add_co_u32 v37, vcc_lo, s2, v37
	v_add_co_ci_u32_e64 v38, null, s3, v38, vcc_lo
	v_add_co_u32 v39, vcc_lo, s2, v39
	v_or_b32_e32 v52, 0x900, v1
	v_add_co_ci_u32_e64 v40, null, s3, v40, vcc_lo
	v_add_co_u32 v41, vcc_lo, s2, v41
	v_or_b32_e32 v54, 0xa00, v1
	v_add_co_ci_u32_e64 v42, null, s3, v42, vcc_lo
	v_or_b32_e32 v56, 0xb00, v1
	v_mov_b32_e32 v59, v2
	v_or_b32_e32 v58, 0xc00, v1
	v_mov_b32_e32 v60, v2
	s_waitcnt vmcnt(15)
	global_store_dwordx2 v[43:44], v[5:6], off
	v_or_b32_e32 v44, 0x500, v1
	v_mov_b32_e32 v6, v2
	v_or_b32_e32 v5, 0xd00, v1
	v_lshlrev_b64 v[43:44], 3, v[44:45]
	v_lshlrev_b64 v[45:46], 3, v[46:47]
	;; [unrolled: 1-line block ×6, first 2 shown]
	v_add_co_u32 v43, vcc_lo, s2, v43
	v_add_co_ci_u32_e64 v44, null, s3, v44, vcc_lo
	v_add_co_u32 v45, vcc_lo, s2, v45
	v_add_co_ci_u32_e64 v46, null, s3, v46, vcc_lo
	v_add_co_u32 v47, vcc_lo, s2, v47
	v_lshlrev_b64 v[55:56], 3, v[56:57]
	v_add_co_ci_u32_e64 v48, null, s3, v48, vcc_lo
	v_add_co_u32 v49, vcc_lo, s2, v49
	v_lshlrev_b64 v[57:58], 3, v[58:59]
	v_or_b32_e32 v59, 0xe00, v1
	v_add_co_ci_u32_e64 v50, null, s3, v50, vcc_lo
	v_add_co_u32 v51, vcc_lo, s2, v51
	v_or_b32_e32 v1, 0xf00, v1
	v_lshlrev_b64 v[5:6], 3, v[5:6]
	v_add_co_ci_u32_e64 v52, null, s3, v52, vcc_lo
	v_add_co_u32 v53, vcc_lo, s2, v53
	v_add_co_ci_u32_e64 v54, null, s3, v54, vcc_lo
	v_add_co_u32 v55, vcc_lo, s2, v55
	v_lshlrev_b64 v[59:60], 3, v[59:60]
	v_add_co_ci_u32_e64 v56, null, s3, v56, vcc_lo
	v_add_co_u32 v57, vcc_lo, s2, v57
	v_lshlrev_b64 v[0:1], 3, v[1:2]
	v_add_co_ci_u32_e64 v58, null, s3, v58, vcc_lo
	v_add_co_u32 v5, vcc_lo, s2, v5
	v_add_co_ci_u32_e64 v6, null, s3, v6, vcc_lo
	v_add_co_u32 v59, vcc_lo, s2, v59
	;; [unrolled: 2-line block ×3, first 2 shown]
	v_add_co_ci_u32_e64 v1, null, s3, v1, vcc_lo
	s_waitcnt vmcnt(14)
	global_store_dwordx2 v[35:36], v[7:8], off
	s_waitcnt vmcnt(13)
	global_store_dwordx2 v[37:38], v[9:10], off
	;; [unrolled: 2-line block ×15, first 2 shown]
	s_endpgm
	.section	.rodata,"a",@progbits
	.p2align	6, 0x0
	.amdhsa_kernel _Z16warp_load_kernelILj256ELj16ELj32ELN6hipcub17WarpLoadAlgorithmE1EdEvPT3_S3_
		.amdhsa_group_segment_fixed_size 0
		.amdhsa_private_segment_fixed_size 0
		.amdhsa_kernarg_size 16
		.amdhsa_user_sgpr_count 6
		.amdhsa_user_sgpr_private_segment_buffer 1
		.amdhsa_user_sgpr_dispatch_ptr 0
		.amdhsa_user_sgpr_queue_ptr 0
		.amdhsa_user_sgpr_kernarg_segment_ptr 1
		.amdhsa_user_sgpr_dispatch_id 0
		.amdhsa_user_sgpr_flat_scratch_init 0
		.amdhsa_user_sgpr_private_segment_size 0
		.amdhsa_wavefront_size32 1
		.amdhsa_uses_dynamic_stack 0
		.amdhsa_system_sgpr_private_segment_wavefront_offset 0
		.amdhsa_system_sgpr_workgroup_id_x 1
		.amdhsa_system_sgpr_workgroup_id_y 0
		.amdhsa_system_sgpr_workgroup_id_z 0
		.amdhsa_system_sgpr_workgroup_info 0
		.amdhsa_system_vgpr_workitem_id 0
		.amdhsa_next_free_vgpr 61
		.amdhsa_next_free_sgpr 7
		.amdhsa_reserve_vcc 1
		.amdhsa_reserve_flat_scratch 0
		.amdhsa_float_round_mode_32 0
		.amdhsa_float_round_mode_16_64 0
		.amdhsa_float_denorm_mode_32 3
		.amdhsa_float_denorm_mode_16_64 3
		.amdhsa_dx10_clamp 1
		.amdhsa_ieee_mode 1
		.amdhsa_fp16_overflow 0
		.amdhsa_workgroup_processor_mode 1
		.amdhsa_memory_ordered 1
		.amdhsa_forward_progress 1
		.amdhsa_shared_vgpr_count 0
		.amdhsa_exception_fp_ieee_invalid_op 0
		.amdhsa_exception_fp_denorm_src 0
		.amdhsa_exception_fp_ieee_div_zero 0
		.amdhsa_exception_fp_ieee_overflow 0
		.amdhsa_exception_fp_ieee_underflow 0
		.amdhsa_exception_fp_ieee_inexact 0
		.amdhsa_exception_int_div_zero 0
	.end_amdhsa_kernel
	.section	.text._Z16warp_load_kernelILj256ELj16ELj32ELN6hipcub17WarpLoadAlgorithmE1EdEvPT3_S3_,"axG",@progbits,_Z16warp_load_kernelILj256ELj16ELj32ELN6hipcub17WarpLoadAlgorithmE1EdEvPT3_S3_,comdat
.Lfunc_end28:
	.size	_Z16warp_load_kernelILj256ELj16ELj32ELN6hipcub17WarpLoadAlgorithmE1EdEvPT3_S3_, .Lfunc_end28-_Z16warp_load_kernelILj256ELj16ELj32ELN6hipcub17WarpLoadAlgorithmE1EdEvPT3_S3_
                                        ; -- End function
	.set _Z16warp_load_kernelILj256ELj16ELj32ELN6hipcub17WarpLoadAlgorithmE1EdEvPT3_S3_.num_vgpr, 61
	.set _Z16warp_load_kernelILj256ELj16ELj32ELN6hipcub17WarpLoadAlgorithmE1EdEvPT3_S3_.num_agpr, 0
	.set _Z16warp_load_kernelILj256ELj16ELj32ELN6hipcub17WarpLoadAlgorithmE1EdEvPT3_S3_.numbered_sgpr, 7
	.set _Z16warp_load_kernelILj256ELj16ELj32ELN6hipcub17WarpLoadAlgorithmE1EdEvPT3_S3_.num_named_barrier, 0
	.set _Z16warp_load_kernelILj256ELj16ELj32ELN6hipcub17WarpLoadAlgorithmE1EdEvPT3_S3_.private_seg_size, 0
	.set _Z16warp_load_kernelILj256ELj16ELj32ELN6hipcub17WarpLoadAlgorithmE1EdEvPT3_S3_.uses_vcc, 1
	.set _Z16warp_load_kernelILj256ELj16ELj32ELN6hipcub17WarpLoadAlgorithmE1EdEvPT3_S3_.uses_flat_scratch, 0
	.set _Z16warp_load_kernelILj256ELj16ELj32ELN6hipcub17WarpLoadAlgorithmE1EdEvPT3_S3_.has_dyn_sized_stack, 0
	.set _Z16warp_load_kernelILj256ELj16ELj32ELN6hipcub17WarpLoadAlgorithmE1EdEvPT3_S3_.has_recursion, 0
	.set _Z16warp_load_kernelILj256ELj16ELj32ELN6hipcub17WarpLoadAlgorithmE1EdEvPT3_S3_.has_indirect_call, 0
	.section	.AMDGPU.csdata,"",@progbits
; Kernel info:
; codeLenInByte = 1004
; TotalNumSgprs: 9
; NumVgprs: 61
; ScratchSize: 0
; MemoryBound: 1
; FloatMode: 240
; IeeeMode: 1
; LDSByteSize: 0 bytes/workgroup (compile time only)
; SGPRBlocks: 0
; VGPRBlocks: 7
; NumSGPRsForWavesPerEU: 9
; NumVGPRsForWavesPerEU: 61
; Occupancy: 16
; WaveLimiterHint : 1
; COMPUTE_PGM_RSRC2:SCRATCH_EN: 0
; COMPUTE_PGM_RSRC2:USER_SGPR: 6
; COMPUTE_PGM_RSRC2:TRAP_HANDLER: 0
; COMPUTE_PGM_RSRC2:TGID_X_EN: 1
; COMPUTE_PGM_RSRC2:TGID_Y_EN: 0
; COMPUTE_PGM_RSRC2:TGID_Z_EN: 0
; COMPUTE_PGM_RSRC2:TIDIG_COMP_CNT: 0
	.section	.text._Z16warp_load_kernelILj256ELj16ELj32ELN6hipcub17WarpLoadAlgorithmE2EdEvPT3_S3_,"axG",@progbits,_Z16warp_load_kernelILj256ELj16ELj32ELN6hipcub17WarpLoadAlgorithmE2EdEvPT3_S3_,comdat
	.protected	_Z16warp_load_kernelILj256ELj16ELj32ELN6hipcub17WarpLoadAlgorithmE2EdEvPT3_S3_ ; -- Begin function _Z16warp_load_kernelILj256ELj16ELj32ELN6hipcub17WarpLoadAlgorithmE2EdEvPT3_S3_
	.globl	_Z16warp_load_kernelILj256ELj16ELj32ELN6hipcub17WarpLoadAlgorithmE2EdEvPT3_S3_
	.p2align	8
	.type	_Z16warp_load_kernelILj256ELj16ELj32ELN6hipcub17WarpLoadAlgorithmE2EdEvPT3_S3_,@function
_Z16warp_load_kernelILj256ELj16ELj32ELN6hipcub17WarpLoadAlgorithmE2EdEvPT3_S3_: ; @_Z16warp_load_kernelILj256ELj16ELj32ELN6hipcub17WarpLoadAlgorithmE2EdEvPT3_S3_
; %bb.0:
	s_load_dwordx4 s[0:3], s[4:5], 0x0
	v_lshlrev_b32_e32 v1, 4, v0
	s_lshl_b32 s4, s6, 12
	v_mov_b32_e32 v34, 0
	v_mbcnt_lo_u32_b32 v3, -1, 0
	v_and_or_b32 v33, 0xe00, v1, s4
	v_mov_b32_e32 v36, v34
	v_lshlrev_b32_e32 v3, 7, v3
	v_mov_b32_e32 v37, v34
	v_lshlrev_b64 v[1:2], 3, v[33:34]
	v_or_b32_e32 v33, s4, v0
	v_mov_b32_e32 v39, v34
	v_mov_b32_e32 v41, v34
	;; [unrolled: 1-line block ×4, first 2 shown]
	v_or_b32_e32 v35, 0x100, v33
	v_lshlrev_b64 v[48:49], 3, v[33:34]
	v_or_b32_e32 v38, 0x300, v33
	s_waitcnt lgkmcnt(0)
	v_add_co_u32 v1, vcc_lo, s0, v1
	v_add_co_ci_u32_e64 v2, null, s1, v2, vcc_lo
	v_lshlrev_b64 v[35:36], 3, v[35:36]
	v_add_co_u32 v29, vcc_lo, v1, v3
	v_add_co_ci_u32_e64 v30, null, 0, v2, vcc_lo
	v_add_co_u32 v48, vcc_lo, s2, v48
	v_add_co_ci_u32_e64 v49, null, s3, v49, vcc_lo
	s_clause 0x7
	global_load_dwordx4 v[1:4], v[29:30], off
	global_load_dwordx4 v[5:8], v[29:30], off offset:16
	global_load_dwordx4 v[9:12], v[29:30], off offset:32
	;; [unrolled: 1-line block ×7, first 2 shown]
	v_add_co_u32 v35, vcc_lo, s2, v35
	v_add_co_ci_u32_e64 v36, null, s3, v36, vcc_lo
	v_or_b32_e32 v40, 0x400, v33
	v_or_b32_e32 v42, 0x500, v33
	;; [unrolled: 1-line block ×3, first 2 shown]
	v_mov_b32_e32 v47, v34
	v_or_b32_e32 v46, 0x700, v33
	v_mov_b32_e32 v50, v34
	v_mov_b32_e32 v52, v34
	v_or_b32_e32 v51, 0x900, v33
	v_mov_b32_e32 v54, v34
	v_or_b32_e32 v53, 0xa00, v33
	;; [unrolled: 2-line block ×4, first 2 shown]
	v_or_b32_e32 v0, 0xd00, v33
	s_waitcnt vmcnt(7)
	global_store_dwordx2 v[35:36], v[3:4], off
	v_or_b32_e32 v36, 0x200, v33
	global_store_dwordx2 v[48:49], v[1:2], off
	v_or_b32_e32 v49, 0x800, v33
	v_mov_b32_e32 v1, v34
	v_mov_b32_e32 v3, v34
	v_lshlrev_b64 v[35:36], 3, v[36:37]
	v_lshlrev_b64 v[37:38], 3, v[38:39]
	;; [unrolled: 1-line block ×6, first 2 shown]
	v_add_co_u32 v35, vcc_lo, s2, v35
	v_add_co_ci_u32_e64 v36, null, s3, v36, vcc_lo
	v_add_co_u32 v37, vcc_lo, s2, v37
	v_add_co_ci_u32_e64 v38, null, s3, v38, vcc_lo
	v_add_co_u32 v39, vcc_lo, s2, v39
	v_lshlrev_b64 v[47:48], 3, v[49:50]
	v_add_co_ci_u32_e64 v40, null, s3, v40, vcc_lo
	v_add_co_u32 v41, vcc_lo, s2, v41
	v_lshlrev_b64 v[49:50], 3, v[51:52]
	;; [unrolled: 3-line block ×4, first 2 shown]
	v_add_co_ci_u32_e64 v46, null, s3, v46, vcc_lo
	v_add_co_u32 v47, vcc_lo, s2, v47
	v_or_b32_e32 v2, 0xe00, v33
	v_lshlrev_b64 v[55:56], 3, v[57:58]
	v_add_co_ci_u32_e64 v48, null, s3, v48, vcc_lo
	v_add_co_u32 v49, vcc_lo, s2, v49
	v_or_b32_e32 v33, 0xf00, v33
	v_lshlrev_b64 v[0:1], 3, v[0:1]
	v_add_co_ci_u32_e64 v50, null, s3, v50, vcc_lo
	v_add_co_u32 v51, vcc_lo, s2, v51
	v_lshlrev_b64 v[2:3], 3, v[2:3]
	v_add_co_ci_u32_e64 v52, null, s3, v52, vcc_lo
	v_add_co_u32 v53, vcc_lo, s2, v53
	;; [unrolled: 3-line block ×3, first 2 shown]
	v_add_co_ci_u32_e64 v56, null, s3, v56, vcc_lo
	v_add_co_u32 v0, vcc_lo, s2, v0
	v_add_co_ci_u32_e64 v1, null, s3, v1, vcc_lo
	v_add_co_u32 v2, vcc_lo, s2, v2
	;; [unrolled: 2-line block ×3, first 2 shown]
	v_add_co_ci_u32_e64 v34, null, s3, v34, vcc_lo
	s_waitcnt vmcnt(6)
	global_store_dwordx2 v[35:36], v[5:6], off
	global_store_dwordx2 v[37:38], v[7:8], off
	s_waitcnt vmcnt(5)
	global_store_dwordx2 v[39:40], v[9:10], off
	global_store_dwordx2 v[41:42], v[11:12], off
	;; [unrolled: 3-line block ×7, first 2 shown]
	s_endpgm
	.section	.rodata,"a",@progbits
	.p2align	6, 0x0
	.amdhsa_kernel _Z16warp_load_kernelILj256ELj16ELj32ELN6hipcub17WarpLoadAlgorithmE2EdEvPT3_S3_
		.amdhsa_group_segment_fixed_size 0
		.amdhsa_private_segment_fixed_size 0
		.amdhsa_kernarg_size 16
		.amdhsa_user_sgpr_count 6
		.amdhsa_user_sgpr_private_segment_buffer 1
		.amdhsa_user_sgpr_dispatch_ptr 0
		.amdhsa_user_sgpr_queue_ptr 0
		.amdhsa_user_sgpr_kernarg_segment_ptr 1
		.amdhsa_user_sgpr_dispatch_id 0
		.amdhsa_user_sgpr_flat_scratch_init 0
		.amdhsa_user_sgpr_private_segment_size 0
		.amdhsa_wavefront_size32 1
		.amdhsa_uses_dynamic_stack 0
		.amdhsa_system_sgpr_private_segment_wavefront_offset 0
		.amdhsa_system_sgpr_workgroup_id_x 1
		.amdhsa_system_sgpr_workgroup_id_y 0
		.amdhsa_system_sgpr_workgroup_id_z 0
		.amdhsa_system_sgpr_workgroup_info 0
		.amdhsa_system_vgpr_workitem_id 0
		.amdhsa_next_free_vgpr 59
		.amdhsa_next_free_sgpr 7
		.amdhsa_reserve_vcc 1
		.amdhsa_reserve_flat_scratch 0
		.amdhsa_float_round_mode_32 0
		.amdhsa_float_round_mode_16_64 0
		.amdhsa_float_denorm_mode_32 3
		.amdhsa_float_denorm_mode_16_64 3
		.amdhsa_dx10_clamp 1
		.amdhsa_ieee_mode 1
		.amdhsa_fp16_overflow 0
		.amdhsa_workgroup_processor_mode 1
		.amdhsa_memory_ordered 1
		.amdhsa_forward_progress 1
		.amdhsa_shared_vgpr_count 0
		.amdhsa_exception_fp_ieee_invalid_op 0
		.amdhsa_exception_fp_denorm_src 0
		.amdhsa_exception_fp_ieee_div_zero 0
		.amdhsa_exception_fp_ieee_overflow 0
		.amdhsa_exception_fp_ieee_underflow 0
		.amdhsa_exception_fp_ieee_inexact 0
		.amdhsa_exception_int_div_zero 0
	.end_amdhsa_kernel
	.section	.text._Z16warp_load_kernelILj256ELj16ELj32ELN6hipcub17WarpLoadAlgorithmE2EdEvPT3_S3_,"axG",@progbits,_Z16warp_load_kernelILj256ELj16ELj32ELN6hipcub17WarpLoadAlgorithmE2EdEvPT3_S3_,comdat
.Lfunc_end29:
	.size	_Z16warp_load_kernelILj256ELj16ELj32ELN6hipcub17WarpLoadAlgorithmE2EdEvPT3_S3_, .Lfunc_end29-_Z16warp_load_kernelILj256ELj16ELj32ELN6hipcub17WarpLoadAlgorithmE2EdEvPT3_S3_
                                        ; -- End function
	.set _Z16warp_load_kernelILj256ELj16ELj32ELN6hipcub17WarpLoadAlgorithmE2EdEvPT3_S3_.num_vgpr, 59
	.set _Z16warp_load_kernelILj256ELj16ELj32ELN6hipcub17WarpLoadAlgorithmE2EdEvPT3_S3_.num_agpr, 0
	.set _Z16warp_load_kernelILj256ELj16ELj32ELN6hipcub17WarpLoadAlgorithmE2EdEvPT3_S3_.numbered_sgpr, 7
	.set _Z16warp_load_kernelILj256ELj16ELj32ELN6hipcub17WarpLoadAlgorithmE2EdEvPT3_S3_.num_named_barrier, 0
	.set _Z16warp_load_kernelILj256ELj16ELj32ELN6hipcub17WarpLoadAlgorithmE2EdEvPT3_S3_.private_seg_size, 0
	.set _Z16warp_load_kernelILj256ELj16ELj32ELN6hipcub17WarpLoadAlgorithmE2EdEvPT3_S3_.uses_vcc, 1
	.set _Z16warp_load_kernelILj256ELj16ELj32ELN6hipcub17WarpLoadAlgorithmE2EdEvPT3_S3_.uses_flat_scratch, 0
	.set _Z16warp_load_kernelILj256ELj16ELj32ELN6hipcub17WarpLoadAlgorithmE2EdEvPT3_S3_.has_dyn_sized_stack, 0
	.set _Z16warp_load_kernelILj256ELj16ELj32ELN6hipcub17WarpLoadAlgorithmE2EdEvPT3_S3_.has_recursion, 0
	.set _Z16warp_load_kernelILj256ELj16ELj32ELN6hipcub17WarpLoadAlgorithmE2EdEvPT3_S3_.has_indirect_call, 0
	.section	.AMDGPU.csdata,"",@progbits
; Kernel info:
; codeLenInByte = 884
; TotalNumSgprs: 9
; NumVgprs: 59
; ScratchSize: 0
; MemoryBound: 0
; FloatMode: 240
; IeeeMode: 1
; LDSByteSize: 0 bytes/workgroup (compile time only)
; SGPRBlocks: 0
; VGPRBlocks: 7
; NumSGPRsForWavesPerEU: 9
; NumVGPRsForWavesPerEU: 59
; Occupancy: 16
; WaveLimiterHint : 0
; COMPUTE_PGM_RSRC2:SCRATCH_EN: 0
; COMPUTE_PGM_RSRC2:USER_SGPR: 6
; COMPUTE_PGM_RSRC2:TRAP_HANDLER: 0
; COMPUTE_PGM_RSRC2:TGID_X_EN: 1
; COMPUTE_PGM_RSRC2:TGID_Y_EN: 0
; COMPUTE_PGM_RSRC2:TGID_Z_EN: 0
; COMPUTE_PGM_RSRC2:TIDIG_COMP_CNT: 0
	.section	.text._Z16warp_load_kernelILj256ELj16ELj32ELN6hipcub17WarpLoadAlgorithmE3EdEvPT3_S3_,"axG",@progbits,_Z16warp_load_kernelILj256ELj16ELj32ELN6hipcub17WarpLoadAlgorithmE3EdEvPT3_S3_,comdat
	.protected	_Z16warp_load_kernelILj256ELj16ELj32ELN6hipcub17WarpLoadAlgorithmE3EdEvPT3_S3_ ; -- Begin function _Z16warp_load_kernelILj256ELj16ELj32ELN6hipcub17WarpLoadAlgorithmE3EdEvPT3_S3_
	.globl	_Z16warp_load_kernelILj256ELj16ELj32ELN6hipcub17WarpLoadAlgorithmE3EdEvPT3_S3_
	.p2align	8
	.type	_Z16warp_load_kernelILj256ELj16ELj32ELN6hipcub17WarpLoadAlgorithmE3EdEvPT3_S3_,@function
_Z16warp_load_kernelILj256ELj16ELj32ELN6hipcub17WarpLoadAlgorithmE3EdEvPT3_S3_: ; @_Z16warp_load_kernelILj256ELj16ELj32ELN6hipcub17WarpLoadAlgorithmE3EdEvPT3_S3_
; %bb.0:
	s_load_dwordx4 s[0:3], s[4:5], 0x0
	v_lshrrev_b32_e32 v35, 5, v0
	s_lshl_b32 s4, s6, 12
	v_mov_b32_e32 v2, 0
	v_mbcnt_lo_u32_b32 v37, -1, 0
	v_lshl_or_b32 v1, v35, 9, s4
	v_lshlrev_b32_e32 v35, 12, v35
	v_mov_b32_e32 v36, v2
	v_mov_b32_e32 v38, v2
	;; [unrolled: 1-line block ×3, first 2 shown]
	v_lshlrev_b64 v[3:4], 3, v[1:2]
	v_lshlrev_b32_e32 v1, 3, v37
	v_lshl_or_b32 v68, v37, 7, v35
	v_mov_b32_e32 v42, v2
	v_mov_b32_e32 v44, v2
	;; [unrolled: 1-line block ×3, first 2 shown]
	v_or_b32_e32 v67, v35, v1
	v_mov_b32_e32 v48, v2
	v_mov_b32_e32 v50, v2
	s_waitcnt lgkmcnt(0)
	v_add_co_u32 v3, vcc_lo, s0, v3
	v_add_co_ci_u32_e64 v4, null, s1, v4, vcc_lo
	v_mov_b32_e32 v52, v2
	v_add_co_u32 v3, vcc_lo, v3, v1
	v_add_co_ci_u32_e64 v4, null, 0, v4, vcc_lo
	v_or_b32_e32 v1, s4, v0
	v_add_co_u32 v13, vcc_lo, 0x800, v3
	v_add_co_ci_u32_e64 v14, null, 0, v4, vcc_lo
	s_clause 0xf
	global_load_dwordx2 v[5:6], v[3:4], off
	global_load_dwordx2 v[7:8], v[3:4], off offset:256
	global_load_dwordx2 v[9:10], v[3:4], off offset:512
	global_load_dwordx2 v[11:12], v[3:4], off offset:768
	global_load_dwordx2 v[15:16], v[3:4], off offset:1024
	global_load_dwordx2 v[17:18], v[3:4], off offset:1280
	global_load_dwordx2 v[19:20], v[3:4], off offset:1536
	global_load_dwordx2 v[3:4], v[3:4], off offset:1792
	global_load_dwordx2 v[21:22], v[13:14], off
	global_load_dwordx2 v[23:24], v[13:14], off offset:256
	global_load_dwordx2 v[25:26], v[13:14], off offset:512
	;; [unrolled: 1-line block ×7, first 2 shown]
	v_or_b32_e32 v35, 0x100, v1
	v_or_b32_e32 v37, 0x200, v1
	v_lshlrev_b64 v[63:64], 3, v[1:2]
	v_or_b32_e32 v39, 0x300, v1
	v_or_b32_e32 v41, 0x400, v1
	v_lshlrev_b64 v[35:36], 3, v[35:36]
	v_lshlrev_b64 v[37:38], 3, v[37:38]
	v_or_b32_e32 v43, 0x500, v1
	v_lshlrev_b64 v[39:40], 3, v[39:40]
	v_add_co_u32 v63, vcc_lo, s2, v63
	v_or_b32_e32 v45, 0x600, v1
	v_lshlrev_b64 v[41:42], 3, v[41:42]
	v_add_co_ci_u32_e64 v64, null, s3, v64, vcc_lo
	v_add_co_u32 v35, vcc_lo, s2, v35
	v_or_b32_e32 v47, 0x700, v1
	v_lshlrev_b64 v[43:44], 3, v[43:44]
	v_add_co_ci_u32_e64 v36, null, s3, v36, vcc_lo
	;; [unrolled: 4-line block ×3, first 2 shown]
	v_add_co_u32 v39, vcc_lo, s2, v39
	v_or_b32_e32 v51, 0x900, v1
	v_or_b32_e32 v53, 0xa00, v1
	;; [unrolled: 1-line block ×7, first 2 shown]
	v_lshlrev_b64 v[47:48], 3, v[47:48]
	v_add_co_ci_u32_e64 v40, null, s3, v40, vcc_lo
	v_add_co_u32 v41, vcc_lo, s2, v41
	v_mov_b32_e32 v54, v2
	v_lshlrev_b64 v[49:50], 3, v[49:50]
	v_add_co_ci_u32_e64 v42, null, s3, v42, vcc_lo
	v_add_co_u32 v43, vcc_lo, s2, v43
	v_mov_b32_e32 v56, v2
	v_add_nc_u32_e32 v0, 0x800, v67
	v_mov_b32_e32 v58, v2
	v_mov_b32_e32 v60, v2
	;; [unrolled: 1-line block ×3, first 2 shown]
	v_lshlrev_b64 v[51:52], 3, v[51:52]
	v_lshlrev_b64 v[65:66], 3, v[1:2]
	v_add_co_ci_u32_e64 v44, null, s3, v44, vcc_lo
	v_add_co_u32 v45, vcc_lo, s2, v45
	v_lshlrev_b64 v[53:54], 3, v[53:54]
	v_add_co_ci_u32_e64 v46, null, s3, v46, vcc_lo
	v_add_co_u32 v47, vcc_lo, s2, v47
	;; [unrolled: 3-line block ×6, first 2 shown]
	v_add_co_ci_u32_e64 v56, null, s3, v56, vcc_lo
	v_add_co_u32 v57, vcc_lo, s2, v57
	v_add_co_ci_u32_e64 v58, null, s3, v58, vcc_lo
	s_waitcnt vmcnt(14)
	ds_write2_b64 v67, v[5:6], v[7:8] offset1:32
	s_waitcnt vmcnt(12)
	ds_write2_b64 v67, v[9:10], v[11:12] offset0:64 offset1:96
	s_waitcnt vmcnt(10)
	ds_write2_b64 v67, v[15:16], v[17:18] offset0:128 offset1:160
	;; [unrolled: 2-line block ×3, first 2 shown]
	s_waitcnt vmcnt(6)
	ds_write2_b64 v0, v[21:22], v[23:24] offset1:32
	s_waitcnt vmcnt(4)
	ds_write2_b64 v0, v[25:26], v[27:28] offset0:64 offset1:96
	s_waitcnt vmcnt(2)
	ds_write2_b64 v0, v[29:30], v[31:32] offset0:128 offset1:160
	;; [unrolled: 2-line block ×3, first 2 shown]
	; wave barrier
	ds_read_b128 v[0:3], v68
	ds_read_b128 v[4:7], v68 offset:16
	ds_read_b128 v[8:11], v68 offset:32
	;; [unrolled: 1-line block ×7, first 2 shown]
	v_add_co_u32 v32, vcc_lo, s2, v59
	v_add_co_ci_u32_e64 v33, null, s3, v60, vcc_lo
	v_add_co_u32 v59, vcc_lo, s2, v61
	v_add_co_ci_u32_e64 v60, null, s3, v62, vcc_lo
	;; [unrolled: 2-line block ×3, first 2 shown]
	s_waitcnt lgkmcnt(7)
	global_store_dwordx2 v[63:64], v[0:1], off
	global_store_dwordx2 v[35:36], v[2:3], off
	s_waitcnt lgkmcnt(6)
	global_store_dwordx2 v[37:38], v[4:5], off
	global_store_dwordx2 v[39:40], v[6:7], off
	;; [unrolled: 3-line block ×8, first 2 shown]
	s_endpgm
	.section	.rodata,"a",@progbits
	.p2align	6, 0x0
	.amdhsa_kernel _Z16warp_load_kernelILj256ELj16ELj32ELN6hipcub17WarpLoadAlgorithmE3EdEvPT3_S3_
		.amdhsa_group_segment_fixed_size 32768
		.amdhsa_private_segment_fixed_size 0
		.amdhsa_kernarg_size 16
		.amdhsa_user_sgpr_count 6
		.amdhsa_user_sgpr_private_segment_buffer 1
		.amdhsa_user_sgpr_dispatch_ptr 0
		.amdhsa_user_sgpr_queue_ptr 0
		.amdhsa_user_sgpr_kernarg_segment_ptr 1
		.amdhsa_user_sgpr_dispatch_id 0
		.amdhsa_user_sgpr_flat_scratch_init 0
		.amdhsa_user_sgpr_private_segment_size 0
		.amdhsa_wavefront_size32 1
		.amdhsa_uses_dynamic_stack 0
		.amdhsa_system_sgpr_private_segment_wavefront_offset 0
		.amdhsa_system_sgpr_workgroup_id_x 1
		.amdhsa_system_sgpr_workgroup_id_y 0
		.amdhsa_system_sgpr_workgroup_id_z 0
		.amdhsa_system_sgpr_workgroup_info 0
		.amdhsa_system_vgpr_workitem_id 0
		.amdhsa_next_free_vgpr 113
		.amdhsa_next_free_sgpr 7
		.amdhsa_reserve_vcc 1
		.amdhsa_reserve_flat_scratch 0
		.amdhsa_float_round_mode_32 0
		.amdhsa_float_round_mode_16_64 0
		.amdhsa_float_denorm_mode_32 3
		.amdhsa_float_denorm_mode_16_64 3
		.amdhsa_dx10_clamp 1
		.amdhsa_ieee_mode 1
		.amdhsa_fp16_overflow 0
		.amdhsa_workgroup_processor_mode 1
		.amdhsa_memory_ordered 1
		.amdhsa_forward_progress 1
		.amdhsa_shared_vgpr_count 0
		.amdhsa_exception_fp_ieee_invalid_op 0
		.amdhsa_exception_fp_denorm_src 0
		.amdhsa_exception_fp_ieee_div_zero 0
		.amdhsa_exception_fp_ieee_overflow 0
		.amdhsa_exception_fp_ieee_underflow 0
		.amdhsa_exception_fp_ieee_inexact 0
		.amdhsa_exception_int_div_zero 0
	.end_amdhsa_kernel
	.section	.text._Z16warp_load_kernelILj256ELj16ELj32ELN6hipcub17WarpLoadAlgorithmE3EdEvPT3_S3_,"axG",@progbits,_Z16warp_load_kernelILj256ELj16ELj32ELN6hipcub17WarpLoadAlgorithmE3EdEvPT3_S3_,comdat
.Lfunc_end30:
	.size	_Z16warp_load_kernelILj256ELj16ELj32ELN6hipcub17WarpLoadAlgorithmE3EdEvPT3_S3_, .Lfunc_end30-_Z16warp_load_kernelILj256ELj16ELj32ELN6hipcub17WarpLoadAlgorithmE3EdEvPT3_S3_
                                        ; -- End function
	.set _Z16warp_load_kernelILj256ELj16ELj32ELN6hipcub17WarpLoadAlgorithmE3EdEvPT3_S3_.num_vgpr, 69
	.set _Z16warp_load_kernelILj256ELj16ELj32ELN6hipcub17WarpLoadAlgorithmE3EdEvPT3_S3_.num_agpr, 0
	.set _Z16warp_load_kernelILj256ELj16ELj32ELN6hipcub17WarpLoadAlgorithmE3EdEvPT3_S3_.numbered_sgpr, 7
	.set _Z16warp_load_kernelILj256ELj16ELj32ELN6hipcub17WarpLoadAlgorithmE3EdEvPT3_S3_.num_named_barrier, 0
	.set _Z16warp_load_kernelILj256ELj16ELj32ELN6hipcub17WarpLoadAlgorithmE3EdEvPT3_S3_.private_seg_size, 0
	.set _Z16warp_load_kernelILj256ELj16ELj32ELN6hipcub17WarpLoadAlgorithmE3EdEvPT3_S3_.uses_vcc, 1
	.set _Z16warp_load_kernelILj256ELj16ELj32ELN6hipcub17WarpLoadAlgorithmE3EdEvPT3_S3_.uses_flat_scratch, 0
	.set _Z16warp_load_kernelILj256ELj16ELj32ELN6hipcub17WarpLoadAlgorithmE3EdEvPT3_S3_.has_dyn_sized_stack, 0
	.set _Z16warp_load_kernelILj256ELj16ELj32ELN6hipcub17WarpLoadAlgorithmE3EdEvPT3_S3_.has_recursion, 0
	.set _Z16warp_load_kernelILj256ELj16ELj32ELN6hipcub17WarpLoadAlgorithmE3EdEvPT3_S3_.has_indirect_call, 0
	.section	.AMDGPU.csdata,"",@progbits
; Kernel info:
; codeLenInByte = 1148
; TotalNumSgprs: 9
; NumVgprs: 69
; ScratchSize: 0
; MemoryBound: 1
; FloatMode: 240
; IeeeMode: 1
; LDSByteSize: 32768 bytes/workgroup (compile time only)
; SGPRBlocks: 0
; VGPRBlocks: 14
; NumSGPRsForWavesPerEU: 9
; NumVGPRsForWavesPerEU: 113
; Occupancy: 8
; WaveLimiterHint : 1
; COMPUTE_PGM_RSRC2:SCRATCH_EN: 0
; COMPUTE_PGM_RSRC2:USER_SGPR: 6
; COMPUTE_PGM_RSRC2:TRAP_HANDLER: 0
; COMPUTE_PGM_RSRC2:TGID_X_EN: 1
; COMPUTE_PGM_RSRC2:TGID_Y_EN: 0
; COMPUTE_PGM_RSRC2:TGID_Z_EN: 0
; COMPUTE_PGM_RSRC2:TIDIG_COMP_CNT: 0
	.section	.text._Z16warp_load_kernelILj256ELj32ELj32ELN6hipcub17WarpLoadAlgorithmE0EdEvPT3_S3_,"axG",@progbits,_Z16warp_load_kernelILj256ELj32ELj32ELN6hipcub17WarpLoadAlgorithmE0EdEvPT3_S3_,comdat
	.protected	_Z16warp_load_kernelILj256ELj32ELj32ELN6hipcub17WarpLoadAlgorithmE0EdEvPT3_S3_ ; -- Begin function _Z16warp_load_kernelILj256ELj32ELj32ELN6hipcub17WarpLoadAlgorithmE0EdEvPT3_S3_
	.globl	_Z16warp_load_kernelILj256ELj32ELj32ELN6hipcub17WarpLoadAlgorithmE0EdEvPT3_S3_
	.p2align	8
	.type	_Z16warp_load_kernelILj256ELj32ELj32ELN6hipcub17WarpLoadAlgorithmE0EdEvPT3_S3_,@function
_Z16warp_load_kernelILj256ELj32ELj32ELN6hipcub17WarpLoadAlgorithmE0EdEvPT3_S3_: ; @_Z16warp_load_kernelILj256ELj32ELj32ELN6hipcub17WarpLoadAlgorithmE0EdEvPT3_S3_
; %bb.0:
	s_load_dwordx4 s[0:3], s[4:5], 0x0
	v_lshlrev_b32_e32 v1, 5, v0
	s_lshl_b32 s4, s6, 13
	v_mov_b32_e32 v46, 0
	v_mbcnt_lo_u32_b32 v3, -1, 0
	v_and_or_b32 v45, 0x1c00, v1, s4
	v_mov_b32_e32 v68, v46
	v_lshlrev_b32_e32 v3, 8, v3
	v_mov_b32_e32 v72, v46
	v_lshlrev_b64 v[1:2], 3, v[45:46]
	v_or_b32_e32 v45, s4, v0
	v_mov_b32_e32 v74, v46
	v_mov_b32_e32 v76, v46
	;; [unrolled: 1-line block ×3, first 2 shown]
	v_lshlrev_b64 v[69:70], 3, v[45:46]
	v_or_b32_e32 v67, 0x100, v45
	v_or_b32_e32 v71, 0x200, v45
	s_waitcnt lgkmcnt(0)
	v_add_co_u32 v1, vcc_lo, s0, v1
	v_add_co_ci_u32_e64 v2, null, s1, v2, vcc_lo
	v_lshlrev_b64 v[67:68], 3, v[67:68]
	v_add_co_u32 v13, vcc_lo, v1, v3
	v_add_co_ci_u32_e64 v14, null, 0, v2, vcc_lo
	v_add_co_u32 v69, vcc_lo, s2, v69
	v_add_co_ci_u32_e64 v70, null, s3, v70, vcc_lo
	s_clause 0xf
	global_load_dwordx4 v[47:50], v[13:14], off
	global_load_dwordx4 v[51:54], v[13:14], off offset:16
	global_load_dwordx4 v[55:58], v[13:14], off offset:32
	;; [unrolled: 1-line block ×15, first 2 shown]
	v_add_co_u32 v67, vcc_lo, s2, v67
	v_add_co_ci_u32_e64 v68, null, s3, v68, vcc_lo
	v_or_b32_e32 v73, 0x300, v45
	v_or_b32_e32 v75, 0x400, v45
	;; [unrolled: 1-line block ×3, first 2 shown]
	s_waitcnt vmcnt(15)
	global_store_dwordx2 v[69:70], v[47:48], off
	v_lshlrev_b64 v[69:70], 3, v[71:72]
	v_mov_b32_e32 v48, v46
	v_or_b32_e32 v47, 0x500, v45
	v_lshlrev_b64 v[71:72], 3, v[73:74]
	global_store_dwordx2 v[67:68], v[49:50], off
	v_mov_b32_e32 v50, v46
	v_add_co_u32 v69, vcc_lo, s2, v69
	v_add_co_ci_u32_e64 v70, null, s3, v70, vcc_lo
	v_or_b32_e32 v49, 0x600, v45
	v_lshlrev_b64 v[47:48], 3, v[47:48]
	v_add_co_u32 v71, vcc_lo, s2, v71
	s_waitcnt vmcnt(14)
	global_store_dwordx2 v[69:70], v[51:52], off
	v_lshlrev_b64 v[69:70], 3, v[75:76]
	v_lshlrev_b64 v[49:50], 3, v[49:50]
	v_add_co_ci_u32_e64 v72, null, s3, v72, vcc_lo
	v_mov_b32_e32 v68, v46
	v_or_b32_e32 v67, 0x700, v45
	v_add_co_u32 v69, vcc_lo, s2, v69
	v_add_co_ci_u32_e64 v70, null, s3, v70, vcc_lo
	v_add_co_u32 v47, vcc_lo, s2, v47
	v_add_co_ci_u32_e64 v48, null, s3, v48, vcc_lo
	;; [unrolled: 2-line block ×3, first 2 shown]
	v_mov_b32_e32 v73, v46
	global_store_dwordx2 v[71:72], v[53:54], off
	v_or_b32_e32 v72, 0x800, v45
	v_mov_b32_e32 v51, v46
	s_waitcnt vmcnt(12)
	global_store_dwordx2 v[49:50], v[59:60], off
	v_or_b32_e32 v50, 0x900, v45
	v_lshlrev_b64 v[67:68], 3, v[67:68]
	v_lshlrev_b64 v[72:73], 3, v[72:73]
	v_mov_b32_e32 v53, v46
	v_or_b32_e32 v52, 0xa00, v45
	v_lshlrev_b64 v[49:50], 3, v[50:51]
	v_mov_b32_e32 v71, v46
	v_add_co_u32 v67, vcc_lo, s2, v67
	v_add_co_ci_u32_e64 v68, null, s3, v68, vcc_lo
	v_add_co_u32 v72, vcc_lo, s2, v72
	v_add_co_ci_u32_e64 v73, null, s3, v73, vcc_lo
	v_add_co_u32 v49, vcc_lo, s2, v49
	global_store_dwordx2 v[69:70], v[55:56], off
	v_add_co_ci_u32_e64 v50, null, s3, v50, vcc_lo
	v_or_b32_e32 v70, 0xb00, v45
	s_waitcnt vmcnt(11)
	global_store_dwordx2 v[72:73], v[63:64], off
	v_lshlrev_b64 v[72:73], 3, v[52:53]
	global_store_dwordx2 v[49:50], v[65:66], off
	v_mov_b32_e32 v54, v46
	v_lshlrev_b64 v[49:50], 3, v[70:71]
	v_or_b32_e32 v53, 0xc00, v45
	v_mov_b32_e32 v56, v46
	v_add_co_u32 v70, vcc_lo, s2, v72
	v_add_co_ci_u32_e64 v71, null, s3, v73, vcc_lo
	v_add_co_u32 v49, vcc_lo, s2, v49
	v_add_co_ci_u32_e64 v50, null, s3, v50, vcc_lo
	v_or_b32_e32 v55, 0xd00, v45
	v_lshlrev_b64 v[52:53], 3, v[53:54]
	global_store_dwordx2 v[47:48], v[57:58], off
	s_waitcnt vmcnt(10)
	global_store_dwordx2 v[49:50], v[43:44], off
	v_mov_b32_e32 v48, v46
	v_lshlrev_b64 v[49:50], 3, v[55:56]
	v_or_b32_e32 v47, 0xe00, v45
	v_mov_b32_e32 v57, v46
	v_or_b32_e32 v56, 0xf00, v45
	v_add_co_u32 v52, vcc_lo, s2, v52
	v_mov_b32_e32 v69, v46
	global_store_dwordx2 v[67:68], v[61:62], off
	v_or_b32_e32 v68, 0x1000, v45
	v_add_co_ci_u32_e64 v53, null, s3, v53, vcc_lo
	v_add_co_u32 v49, vcc_lo, s2, v49
	v_lshlrev_b64 v[47:48], 3, v[47:48]
	v_mov_b32_e32 v59, v46
	v_or_b32_e32 v58, 0x1100, v45
	v_add_co_ci_u32_e64 v50, null, s3, v50, vcc_lo
	v_lshlrev_b64 v[55:56], 3, v[56:57]
	v_mov_b32_e32 v61, v46
	v_or_b32_e32 v60, 0x1200, v45
	v_lshlrev_b64 v[68:69], 3, v[68:69]
	v_mov_b32_e32 v67, v46
	v_or_b32_e32 v66, 0x1300, v45
	v_lshlrev_b64 v[57:58], 3, v[58:59]
	v_add_co_u32 v47, vcc_lo, s2, v47
	s_waitcnt vmcnt(9)
	global_store_dwordx2 v[49:50], v[39:40], off
	v_or_b32_e32 v50, 0x1400, v45
	v_lshlrev_b64 v[59:60], 3, v[60:61]
	v_add_co_ci_u32_e64 v48, null, s3, v48, vcc_lo
	v_add_co_u32 v55, vcc_lo, s2, v55
	v_mov_b32_e32 v63, v46
	v_or_b32_e32 v62, 0x1500, v45
	v_lshlrev_b64 v[66:67], 3, v[66:67]
	v_add_co_ci_u32_e64 v56, null, s3, v56, vcc_lo
	v_add_co_u32 v68, vcc_lo, s2, v68
	v_mov_b32_e32 v65, v46
	v_or_b32_e32 v64, 0x1600, v45
	v_lshlrev_b64 v[49:50], 3, v[50:51]
	v_add_co_ci_u32_e64 v69, null, s3, v69, vcc_lo
	v_add_co_u32 v57, vcc_lo, s2, v57
	v_or_b32_e32 v73, 0x1700, v45
	global_store_dwordx2 v[52:53], v[37:38], off
	v_lshlrev_b64 v[51:52], 3, v[62:63]
	v_add_co_ci_u32_e64 v58, null, s3, v58, vcc_lo
	v_add_co_u32 v59, vcc_lo, s2, v59
	v_mov_b32_e32 v72, v46
	global_store_dwordx2 v[70:71], v[41:42], off
	v_or_b32_e32 v71, 0x1800, v45
	v_lshlrev_b64 v[61:62], 3, v[64:65]
	v_add_co_ci_u32_e64 v60, null, s3, v60, vcc_lo
	v_add_co_u32 v65, vcc_lo, s2, v66
	v_mov_b32_e32 v41, v46
	v_or_b32_e32 v40, 0x1900, v45
	v_lshlrev_b64 v[63:64], 3, v[73:74]
	v_add_co_ci_u32_e64 v66, null, s3, v67, vcc_lo
	v_add_co_u32 v49, vcc_lo, s2, v49
	v_mov_b32_e32 v43, v46
	v_or_b32_e32 v42, 0x1a00, v45
	v_lshlrev_b64 v[70:71], 3, v[71:72]
	v_add_co_ci_u32_e64 v50, null, s3, v50, vcc_lo
	v_add_co_u32 v51, vcc_lo, s2, v51
	v_or_b32_e32 v53, 0x1b00, v45
	v_lshlrev_b64 v[39:40], 3, v[40:41]
	v_add_co_ci_u32_e64 v52, null, s3, v52, vcc_lo
	v_add_co_u32 v61, vcc_lo, s2, v61
	;; [unrolled: 4-line block ×3, first 2 shown]
	v_mov_b32_e32 v38, v46
	v_or_b32_e32 v37, 0x1d00, v45
	v_lshlrev_b64 v[43:44], 3, v[53:54]
	v_add_co_ci_u32_e64 v64, null, s3, v64, vcc_lo
	v_add_co_u32 v70, vcc_lo, s2, v70
	v_lshlrev_b64 v[53:54], 3, v[75:76]
	v_add_co_ci_u32_e64 v71, null, s3, v71, vcc_lo
	v_add_co_u32 v39, vcc_lo, s2, v39
	v_or_b32_e32 v45, 0x1f00, v45
	v_lshlrev_b64 v[37:38], 3, v[37:38]
	v_add_co_ci_u32_e64 v40, null, s3, v40, vcc_lo
	v_add_co_u32 v41, vcc_lo, s2, v41
	v_lshlrev_b64 v[72:73], 3, v[77:78]
	v_add_co_ci_u32_e64 v42, null, s3, v42, vcc_lo
	v_add_co_u32 v43, vcc_lo, s2, v43
	v_lshlrev_b64 v[45:46], 3, v[45:46]
	v_add_co_ci_u32_e64 v44, null, s3, v44, vcc_lo
	v_add_co_u32 v53, vcc_lo, s2, v53
	v_add_co_ci_u32_e64 v54, null, s3, v54, vcc_lo
	v_add_co_u32 v37, vcc_lo, s2, v37
	v_add_co_ci_u32_e64 v38, null, s3, v38, vcc_lo
	v_add_co_u32 v72, vcc_lo, s2, v72
	;; [unrolled: 2-line block ×3, first 2 shown]
	v_add_co_ci_u32_e64 v46, null, s3, v46, vcc_lo
	s_waitcnt vmcnt(8)
	global_store_dwordx2 v[47:48], v[1:2], off
	global_store_dwordx2 v[55:56], v[3:4], off
	s_waitcnt vmcnt(7)
	global_store_dwordx2 v[68:69], v[5:6], off
	global_store_dwordx2 v[57:58], v[7:8], off
	s_waitcnt vmcnt(6)
	global_store_dwordx2 v[59:60], v[9:10], off
	global_store_dwordx2 v[65:66], v[11:12], off
	s_waitcnt vmcnt(5)
	global_store_dwordx2 v[49:50], v[33:34], off
	global_store_dwordx2 v[51:52], v[35:36], off
	s_waitcnt vmcnt(4)
	global_store_dwordx2 v[61:62], v[29:30], off
	global_store_dwordx2 v[63:64], v[31:32], off
	s_waitcnt vmcnt(3)
	global_store_dwordx2 v[70:71], v[25:26], off
	global_store_dwordx2 v[39:40], v[27:28], off
	s_waitcnt vmcnt(2)
	global_store_dwordx2 v[41:42], v[21:22], off
	global_store_dwordx2 v[43:44], v[23:24], off
	s_waitcnt vmcnt(1)
	global_store_dwordx2 v[53:54], v[17:18], off
	global_store_dwordx2 v[37:38], v[19:20], off
	s_waitcnt vmcnt(0)
	global_store_dwordx2 v[72:73], v[13:14], off
	global_store_dwordx2 v[45:46], v[15:16], off
	s_endpgm
	.section	.rodata,"a",@progbits
	.p2align	6, 0x0
	.amdhsa_kernel _Z16warp_load_kernelILj256ELj32ELj32ELN6hipcub17WarpLoadAlgorithmE0EdEvPT3_S3_
		.amdhsa_group_segment_fixed_size 0
		.amdhsa_private_segment_fixed_size 0
		.amdhsa_kernarg_size 16
		.amdhsa_user_sgpr_count 6
		.amdhsa_user_sgpr_private_segment_buffer 1
		.amdhsa_user_sgpr_dispatch_ptr 0
		.amdhsa_user_sgpr_queue_ptr 0
		.amdhsa_user_sgpr_kernarg_segment_ptr 1
		.amdhsa_user_sgpr_dispatch_id 0
		.amdhsa_user_sgpr_flat_scratch_init 0
		.amdhsa_user_sgpr_private_segment_size 0
		.amdhsa_wavefront_size32 1
		.amdhsa_uses_dynamic_stack 0
		.amdhsa_system_sgpr_private_segment_wavefront_offset 0
		.amdhsa_system_sgpr_workgroup_id_x 1
		.amdhsa_system_sgpr_workgroup_id_y 0
		.amdhsa_system_sgpr_workgroup_id_z 0
		.amdhsa_system_sgpr_workgroup_info 0
		.amdhsa_system_vgpr_workitem_id 0
		.amdhsa_next_free_vgpr 79
		.amdhsa_next_free_sgpr 7
		.amdhsa_reserve_vcc 1
		.amdhsa_reserve_flat_scratch 0
		.amdhsa_float_round_mode_32 0
		.amdhsa_float_round_mode_16_64 0
		.amdhsa_float_denorm_mode_32 3
		.amdhsa_float_denorm_mode_16_64 3
		.amdhsa_dx10_clamp 1
		.amdhsa_ieee_mode 1
		.amdhsa_fp16_overflow 0
		.amdhsa_workgroup_processor_mode 1
		.amdhsa_memory_ordered 1
		.amdhsa_forward_progress 1
		.amdhsa_shared_vgpr_count 0
		.amdhsa_exception_fp_ieee_invalid_op 0
		.amdhsa_exception_fp_denorm_src 0
		.amdhsa_exception_fp_ieee_div_zero 0
		.amdhsa_exception_fp_ieee_overflow 0
		.amdhsa_exception_fp_ieee_underflow 0
		.amdhsa_exception_fp_ieee_inexact 0
		.amdhsa_exception_int_div_zero 0
	.end_amdhsa_kernel
	.section	.text._Z16warp_load_kernelILj256ELj32ELj32ELN6hipcub17WarpLoadAlgorithmE0EdEvPT3_S3_,"axG",@progbits,_Z16warp_load_kernelILj256ELj32ELj32ELN6hipcub17WarpLoadAlgorithmE0EdEvPT3_S3_,comdat
.Lfunc_end31:
	.size	_Z16warp_load_kernelILj256ELj32ELj32ELN6hipcub17WarpLoadAlgorithmE0EdEvPT3_S3_, .Lfunc_end31-_Z16warp_load_kernelILj256ELj32ELj32ELN6hipcub17WarpLoadAlgorithmE0EdEvPT3_S3_
                                        ; -- End function
	.set _Z16warp_load_kernelILj256ELj32ELj32ELN6hipcub17WarpLoadAlgorithmE0EdEvPT3_S3_.num_vgpr, 79
	.set _Z16warp_load_kernelILj256ELj32ELj32ELN6hipcub17WarpLoadAlgorithmE0EdEvPT3_S3_.num_agpr, 0
	.set _Z16warp_load_kernelILj256ELj32ELj32ELN6hipcub17WarpLoadAlgorithmE0EdEvPT3_S3_.numbered_sgpr, 7
	.set _Z16warp_load_kernelILj256ELj32ELj32ELN6hipcub17WarpLoadAlgorithmE0EdEvPT3_S3_.num_named_barrier, 0
	.set _Z16warp_load_kernelILj256ELj32ELj32ELN6hipcub17WarpLoadAlgorithmE0EdEvPT3_S3_.private_seg_size, 0
	.set _Z16warp_load_kernelILj256ELj32ELj32ELN6hipcub17WarpLoadAlgorithmE0EdEvPT3_S3_.uses_vcc, 1
	.set _Z16warp_load_kernelILj256ELj32ELj32ELN6hipcub17WarpLoadAlgorithmE0EdEvPT3_S3_.uses_flat_scratch, 0
	.set _Z16warp_load_kernelILj256ELj32ELj32ELN6hipcub17WarpLoadAlgorithmE0EdEvPT3_S3_.has_dyn_sized_stack, 0
	.set _Z16warp_load_kernelILj256ELj32ELj32ELN6hipcub17WarpLoadAlgorithmE0EdEvPT3_S3_.has_recursion, 0
	.set _Z16warp_load_kernelILj256ELj32ELj32ELN6hipcub17WarpLoadAlgorithmE0EdEvPT3_S3_.has_indirect_call, 0
	.section	.AMDGPU.csdata,"",@progbits
; Kernel info:
; codeLenInByte = 1664
; TotalNumSgprs: 9
; NumVgprs: 79
; ScratchSize: 0
; MemoryBound: 1
; FloatMode: 240
; IeeeMode: 1
; LDSByteSize: 0 bytes/workgroup (compile time only)
; SGPRBlocks: 0
; VGPRBlocks: 9
; NumSGPRsForWavesPerEU: 9
; NumVGPRsForWavesPerEU: 79
; Occupancy: 12
; WaveLimiterHint : 1
; COMPUTE_PGM_RSRC2:SCRATCH_EN: 0
; COMPUTE_PGM_RSRC2:USER_SGPR: 6
; COMPUTE_PGM_RSRC2:TRAP_HANDLER: 0
; COMPUTE_PGM_RSRC2:TGID_X_EN: 1
; COMPUTE_PGM_RSRC2:TGID_Y_EN: 0
; COMPUTE_PGM_RSRC2:TGID_Z_EN: 0
; COMPUTE_PGM_RSRC2:TIDIG_COMP_CNT: 0
	.section	.text._Z16warp_load_kernelILj256ELj32ELj32ELN6hipcub17WarpLoadAlgorithmE1EdEvPT3_S3_,"axG",@progbits,_Z16warp_load_kernelILj256ELj32ELj32ELN6hipcub17WarpLoadAlgorithmE1EdEvPT3_S3_,comdat
	.protected	_Z16warp_load_kernelILj256ELj32ELj32ELN6hipcub17WarpLoadAlgorithmE1EdEvPT3_S3_ ; -- Begin function _Z16warp_load_kernelILj256ELj32ELj32ELN6hipcub17WarpLoadAlgorithmE1EdEvPT3_S3_
	.globl	_Z16warp_load_kernelILj256ELj32ELj32ELN6hipcub17WarpLoadAlgorithmE1EdEvPT3_S3_
	.p2align	8
	.type	_Z16warp_load_kernelILj256ELj32ELj32ELN6hipcub17WarpLoadAlgorithmE1EdEvPT3_S3_,@function
_Z16warp_load_kernelILj256ELj32ELj32ELN6hipcub17WarpLoadAlgorithmE1EdEvPT3_S3_: ; @_Z16warp_load_kernelILj256ELj32ELj32ELN6hipcub17WarpLoadAlgorithmE1EdEvPT3_S3_
; %bb.0:
	s_load_dwordx4 s[0:3], s[4:5], 0x0
	v_lshlrev_b32_e32 v1, 5, v0
	s_lshl_b32 s4, s6, 13
	v_mov_b32_e32 v2, 0
	v_mbcnt_lo_u32_b32 v5, -1, 0
	v_and_or_b32 v1, 0x1c00, v1, s4
	v_mov_b32_e32 v70, v2
	v_mov_b32_e32 v72, v2
	;; [unrolled: 1-line block ×3, first 2 shown]
	v_lshlrev_b64 v[3:4], 3, v[1:2]
	v_lshlrev_b32_e32 v1, 3, v5
	v_mov_b32_e32 v76, v2
	v_mov_b32_e32 v78, v2
	;; [unrolled: 1-line block ×3, first 2 shown]
	s_waitcnt lgkmcnt(0)
	v_add_co_u32 v3, vcc_lo, s0, v3
	v_add_co_ci_u32_e64 v4, null, s1, v4, vcc_lo
	v_add_co_u32 v3, vcc_lo, v3, v1
	v_add_co_ci_u32_e64 v4, null, 0, v4, vcc_lo
	v_or_b32_e32 v1, s4, v0
	v_add_co_u32 v11, vcc_lo, v3, 0x1000
	s_clause 0x7
	global_load_dwordx2 v[45:46], v[3:4], off
	global_load_dwordx2 v[47:48], v[3:4], off offset:256
	global_load_dwordx2 v[49:50], v[3:4], off offset:512
	;; [unrolled: 1-line block ×7, first 2 shown]
	v_add_co_ci_u32_e64 v12, null, 0, v4, vcc_lo
	v_add_co_u32 v9, vcc_lo, 0x800, v3
	v_add_co_ci_u32_e64 v10, null, 0, v4, vcc_lo
	s_clause 0x4
	global_load_dwordx2 v[61:62], v[11:12], off offset:-2048
	global_load_dwordx2 v[63:64], v[9:10], off offset:256
	global_load_dwordx2 v[65:66], v[9:10], off offset:512
	;; [unrolled: 1-line block ×4, first 2 shown]
	v_add_co_u32 v25, vcc_lo, 0x1000, v3
	v_add_co_ci_u32_e64 v26, null, 0, v4, vcc_lo
	v_add_co_u32 v3, vcc_lo, 0x1800, v3
	v_add_co_ci_u32_e64 v4, null, 0, v4, vcc_lo
	s_clause 0x12
	global_load_dwordx2 v[5:6], v[9:10], off offset:1280
	global_load_dwordx2 v[7:8], v[9:10], off offset:1536
	;; [unrolled: 1-line block ×3, first 2 shown]
	global_load_dwordx2 v[11:12], v[11:12], off
	global_load_dwordx2 v[13:14], v[25:26], off offset:256
	global_load_dwordx2 v[15:16], v[25:26], off offset:512
	;; [unrolled: 1-line block ×7, first 2 shown]
	global_load_dwordx2 v[27:28], v[3:4], off
	global_load_dwordx2 v[29:30], v[3:4], off offset:256
	global_load_dwordx2 v[31:32], v[3:4], off offset:512
	;; [unrolled: 1-line block ×7, first 2 shown]
	v_lshlrev_b64 v[67:68], 3, v[1:2]
	v_or_b32_e32 v69, 0x100, v1
	v_or_b32_e32 v71, 0x200, v1
	;; [unrolled: 1-line block ×5, first 2 shown]
	v_add_co_u32 v67, vcc_lo, s2, v67
	v_add_co_ci_u32_e64 v68, null, s3, v68, vcc_lo
	v_lshlrev_b64 v[69:70], 3, v[69:70]
	v_lshlrev_b64 v[77:78], 3, v[77:78]
	v_add_co_u32 v69, vcc_lo, s2, v69
	v_add_co_ci_u32_e64 v70, null, s3, v70, vcc_lo
	s_waitcnt vmcnt(31)
	global_store_dwordx2 v[67:68], v[45:46], off
	v_lshlrev_b64 v[67:68], 3, v[71:72]
	s_waitcnt vmcnt(30)
	global_store_dwordx2 v[69:70], v[47:48], off
	v_lshlrev_b64 v[69:70], 3, v[73:74]
	v_mov_b32_e32 v46, v2
	v_or_b32_e32 v45, 0x500, v1
	v_mov_b32_e32 v71, v2
	v_add_co_u32 v67, vcc_lo, s2, v67
	v_add_co_ci_u32_e64 v68, null, s3, v68, vcc_lo
	v_mov_b32_e32 v47, v2
	v_mov_b32_e32 v48, v2
	;; [unrolled: 1-line block ×3, first 2 shown]
	s_waitcnt vmcnt(29)
	global_store_dwordx2 v[67:68], v[49:50], off
	v_lshlrev_b64 v[49:50], 3, v[75:76]
	v_add_co_u32 v67, vcc_lo, s2, v69
	v_add_co_ci_u32_e64 v68, null, s3, v70, vcc_lo
	v_or_b32_e32 v70, 0x600, v1
	v_add_co_u32 v49, vcc_lo, s2, v49
	v_add_co_ci_u32_e64 v50, null, s3, v50, vcc_lo
	s_waitcnt vmcnt(28)
	global_store_dwordx2 v[67:68], v[51:52], off
	v_lshlrev_b64 v[67:68], 3, v[45:46]
	v_or_b32_e32 v46, 0x700, v1
	s_waitcnt vmcnt(27)
	global_store_dwordx2 v[49:50], v[53:54], off
	v_lshlrev_b64 v[49:50], 3, v[70:71]
	v_or_b32_e32 v71, 0x800, v1
	v_mov_b32_e32 v69, v2
	v_add_co_u32 v52, vcc_lo, s2, v67
	v_add_co_ci_u32_e64 v53, null, s3, v68, vcc_lo
	v_add_co_u32 v49, vcc_lo, s2, v49
	v_add_co_ci_u32_e64 v50, null, s3, v50, vcc_lo
	v_lshlrev_b64 v[46:47], 3, v[46:47]
	v_mov_b32_e32 v51, v2
	v_mov_b32_e32 v45, v2
	s_waitcnt vmcnt(25)
	global_store_dwordx2 v[49:50], v[57:58], off
	v_lshlrev_b64 v[57:58], 3, v[71:72]
	v_or_b32_e32 v50, 0xb00, v1
	v_add_co_u32 v67, vcc_lo, s2, v46
	v_add_co_ci_u32_e64 v68, null, s3, v47, vcc_lo
	v_add_co_u32 v57, vcc_lo, s2, v57
	v_or_b32_e32 v47, 0x900, v1
	v_add_co_ci_u32_e64 v58, null, s3, v58, vcc_lo
	s_waitcnt vmcnt(24)
	global_store_dwordx2 v[67:68], v[59:60], off
	v_or_b32_e32 v68, 0xa00, v1
	v_lshlrev_b64 v[46:47], 3, v[47:48]
	s_waitcnt vmcnt(23)
	global_store_dwordx2 v[57:58], v[61:62], off
	v_lshlrev_b64 v[50:51], 3, v[50:51]
	v_or_b32_e32 v72, 0xc00, v1
	v_lshlrev_b64 v[57:58], 3, v[68:69]
	v_mov_b32_e32 v54, v2
	v_add_co_u32 v46, vcc_lo, s2, v46
	v_add_co_ci_u32_e64 v47, null, s3, v47, vcc_lo
	v_add_co_u32 v57, vcc_lo, s2, v57
	v_add_co_ci_u32_e64 v58, null, s3, v58, vcc_lo
	;; [unrolled: 2-line block ×3, first 2 shown]
	s_waitcnt vmcnt(21)
	global_store_dwordx2 v[57:58], v[65:66], off
	v_lshlrev_b64 v[57:58], 3, v[72:73]
	global_store_dwordx2 v[52:53], v[55:56], off
	s_waitcnt vmcnt(20)
	global_store_dwordx2 v[50:51], v[43:44], off
	v_or_b32_e32 v44, 0xd00, v1
	v_or_b32_e32 v53, 0xe00, v1
	v_mov_b32_e32 v52, v2
	v_add_co_u32 v57, vcc_lo, s2, v57
	v_add_co_ci_u32_e64 v58, null, s3, v58, vcc_lo
	v_or_b32_e32 v51, 0xf00, v1
	v_lshlrev_b64 v[44:45], 3, v[44:45]
	v_mov_b32_e32 v56, v2
	v_mov_b32_e32 v43, v2
	s_waitcnt vmcnt(19)
	global_store_dwordx2 v[57:58], v[41:42], off
	v_or_b32_e32 v55, 0x1000, v1
	v_or_b32_e32 v42, 0x1b00, v1
	v_lshlrev_b64 v[53:54], 3, v[53:54]
	v_mov_b32_e32 v49, v2
	v_or_b32_e32 v48, 0x1100, v1
	v_lshlrev_b64 v[50:51], 3, v[51:52]
	v_mov_b32_e32 v70, v2
	v_or_b32_e32 v69, 0x1200, v1
	v_lshlrev_b64 v[55:56], 3, v[55:56]
	v_lshlrev_b64 v[41:42], 3, v[42:43]
	v_add_co_u32 v43, vcc_lo, s2, v44
	v_mov_b32_e32 v59, v2
	v_or_b32_e32 v58, 0x1300, v1
	v_lshlrev_b64 v[48:49], 3, v[48:49]
	v_add_co_ci_u32_e64 v44, null, s3, v45, vcc_lo
	v_add_co_u32 v52, vcc_lo, s2, v53
	v_mov_b32_e32 v67, v2
	v_or_b32_e32 v66, 0x1400, v1
	v_lshlrev_b64 v[68:69], 3, v[69:70]
	v_add_co_ci_u32_e64 v53, null, s3, v54, vcc_lo
	;; [unrolled: 5-line block ×3, first 2 shown]
	v_add_co_u32 v54, vcc_lo, s2, v55
	v_or_b32_e32 v73, 0x1600, v1
	v_lshlrev_b64 v[66:67], 3, v[66:67]
	v_add_co_ci_u32_e64 v55, null, s3, v56, vcc_lo
	v_add_co_u32 v48, vcc_lo, s2, v48
	global_store_dwordx2 v[46:47], v[63:64], off
	v_mov_b32_e32 v47, v2
	v_mov_b32_e32 v63, v2
	;; [unrolled: 1-line block ×3, first 2 shown]
	v_or_b32_e32 v46, 0x1700, v1
	v_or_b32_e32 v62, 0x1800, v1
	;; [unrolled: 1-line block ×3, first 2 shown]
	v_lshlrev_b64 v[59:60], 3, v[60:61]
	v_add_co_ci_u32_e64 v49, null, s3, v49, vcc_lo
	v_add_co_u32 v68, vcc_lo, s2, v68
	v_lshlrev_b64 v[73:74], 3, v[73:74]
	v_add_co_ci_u32_e64 v69, null, s3, v69, vcc_lo
	v_add_co_u32 v56, vcc_lo, s2, v57
	v_mov_b32_e32 v72, v2
	v_or_b32_e32 v71, 0x1a00, v1
	v_lshlrev_b64 v[46:47], 3, v[46:47]
	v_lshlrev_b64 v[61:62], 3, v[62:63]
	;; [unrolled: 1-line block ×3, first 2 shown]
	v_add_co_ci_u32_e64 v57, null, s3, v58, vcc_lo
	v_add_co_u32 v65, vcc_lo, s2, v66
	v_add_co_ci_u32_e64 v66, null, s3, v67, vcc_lo
	v_add_co_u32 v58, vcc_lo, s2, v59
	v_lshlrev_b64 v[70:71], 3, v[71:72]
	v_add_co_ci_u32_e64 v59, null, s3, v60, vcc_lo
	v_add_co_u32 v72, vcc_lo, s2, v73
	v_or_b32_e32 v75, 0x1c00, v1
	v_add_co_ci_u32_e64 v73, null, s3, v74, vcc_lo
	v_add_co_u32 v45, vcc_lo, s2, v46
	v_add_co_ci_u32_e64 v46, null, s3, v47, vcc_lo
	v_add_co_u32 v60, vcc_lo, s2, v61
	v_lshlrev_b64 v[75:76], 3, v[75:76]
	v_add_co_ci_u32_e64 v61, null, s3, v62, vcc_lo
	v_add_co_u32 v62, vcc_lo, s2, v63
	v_add_co_ci_u32_e64 v63, null, s3, v64, vcc_lo
	v_add_co_u32 v70, vcc_lo, s2, v70
	;; [unrolled: 2-line block ×5, first 2 shown]
	v_add_co_ci_u32_e64 v77, null, s3, v78, vcc_lo
	v_or_b32_e32 v78, 0x1e00, v1
	v_or_b32_e32 v1, 0x1f00, v1
	v_lshlrev_b64 v[78:79], 3, v[78:79]
	v_lshlrev_b64 v[0:1], 3, v[1:2]
	v_add_co_u32 v78, vcc_lo, s2, v78
	v_add_co_ci_u32_e64 v79, null, s3, v79, vcc_lo
	v_add_co_u32 v0, vcc_lo, s2, v0
	v_add_co_ci_u32_e64 v1, null, s3, v1, vcc_lo
	s_waitcnt vmcnt(18)
	global_store_dwordx2 v[43:44], v[5:6], off
	s_waitcnt vmcnt(17)
	global_store_dwordx2 v[52:53], v[7:8], off
	;; [unrolled: 2-line block ×19, first 2 shown]
	s_endpgm
	.section	.rodata,"a",@progbits
	.p2align	6, 0x0
	.amdhsa_kernel _Z16warp_load_kernelILj256ELj32ELj32ELN6hipcub17WarpLoadAlgorithmE1EdEvPT3_S3_
		.amdhsa_group_segment_fixed_size 0
		.amdhsa_private_segment_fixed_size 0
		.amdhsa_kernarg_size 16
		.amdhsa_user_sgpr_count 6
		.amdhsa_user_sgpr_private_segment_buffer 1
		.amdhsa_user_sgpr_dispatch_ptr 0
		.amdhsa_user_sgpr_queue_ptr 0
		.amdhsa_user_sgpr_kernarg_segment_ptr 1
		.amdhsa_user_sgpr_dispatch_id 0
		.amdhsa_user_sgpr_flat_scratch_init 0
		.amdhsa_user_sgpr_private_segment_size 0
		.amdhsa_wavefront_size32 1
		.amdhsa_uses_dynamic_stack 0
		.amdhsa_system_sgpr_private_segment_wavefront_offset 0
		.amdhsa_system_sgpr_workgroup_id_x 1
		.amdhsa_system_sgpr_workgroup_id_y 0
		.amdhsa_system_sgpr_workgroup_id_z 0
		.amdhsa_system_sgpr_workgroup_info 0
		.amdhsa_system_vgpr_workitem_id 0
		.amdhsa_next_free_vgpr 80
		.amdhsa_next_free_sgpr 7
		.amdhsa_reserve_vcc 1
		.amdhsa_reserve_flat_scratch 0
		.amdhsa_float_round_mode_32 0
		.amdhsa_float_round_mode_16_64 0
		.amdhsa_float_denorm_mode_32 3
		.amdhsa_float_denorm_mode_16_64 3
		.amdhsa_dx10_clamp 1
		.amdhsa_ieee_mode 1
		.amdhsa_fp16_overflow 0
		.amdhsa_workgroup_processor_mode 1
		.amdhsa_memory_ordered 1
		.amdhsa_forward_progress 1
		.amdhsa_shared_vgpr_count 0
		.amdhsa_exception_fp_ieee_invalid_op 0
		.amdhsa_exception_fp_denorm_src 0
		.amdhsa_exception_fp_ieee_div_zero 0
		.amdhsa_exception_fp_ieee_overflow 0
		.amdhsa_exception_fp_ieee_underflow 0
		.amdhsa_exception_fp_ieee_inexact 0
		.amdhsa_exception_int_div_zero 0
	.end_amdhsa_kernel
	.section	.text._Z16warp_load_kernelILj256ELj32ELj32ELN6hipcub17WarpLoadAlgorithmE1EdEvPT3_S3_,"axG",@progbits,_Z16warp_load_kernelILj256ELj32ELj32ELN6hipcub17WarpLoadAlgorithmE1EdEvPT3_S3_,comdat
.Lfunc_end32:
	.size	_Z16warp_load_kernelILj256ELj32ELj32ELN6hipcub17WarpLoadAlgorithmE1EdEvPT3_S3_, .Lfunc_end32-_Z16warp_load_kernelILj256ELj32ELj32ELN6hipcub17WarpLoadAlgorithmE1EdEvPT3_S3_
                                        ; -- End function
	.set _Z16warp_load_kernelILj256ELj32ELj32ELN6hipcub17WarpLoadAlgorithmE1EdEvPT3_S3_.num_vgpr, 80
	.set _Z16warp_load_kernelILj256ELj32ELj32ELN6hipcub17WarpLoadAlgorithmE1EdEvPT3_S3_.num_agpr, 0
	.set _Z16warp_load_kernelILj256ELj32ELj32ELN6hipcub17WarpLoadAlgorithmE1EdEvPT3_S3_.numbered_sgpr, 7
	.set _Z16warp_load_kernelILj256ELj32ELj32ELN6hipcub17WarpLoadAlgorithmE1EdEvPT3_S3_.num_named_barrier, 0
	.set _Z16warp_load_kernelILj256ELj32ELj32ELN6hipcub17WarpLoadAlgorithmE1EdEvPT3_S3_.private_seg_size, 0
	.set _Z16warp_load_kernelILj256ELj32ELj32ELN6hipcub17WarpLoadAlgorithmE1EdEvPT3_S3_.uses_vcc, 1
	.set _Z16warp_load_kernelILj256ELj32ELj32ELN6hipcub17WarpLoadAlgorithmE1EdEvPT3_S3_.uses_flat_scratch, 0
	.set _Z16warp_load_kernelILj256ELj32ELj32ELN6hipcub17WarpLoadAlgorithmE1EdEvPT3_S3_.has_dyn_sized_stack, 0
	.set _Z16warp_load_kernelILj256ELj32ELj32ELN6hipcub17WarpLoadAlgorithmE1EdEvPT3_S3_.has_recursion, 0
	.set _Z16warp_load_kernelILj256ELj32ELj32ELN6hipcub17WarpLoadAlgorithmE1EdEvPT3_S3_.has_indirect_call, 0
	.section	.AMDGPU.csdata,"",@progbits
; Kernel info:
; codeLenInByte = 1944
; TotalNumSgprs: 9
; NumVgprs: 80
; ScratchSize: 0
; MemoryBound: 1
; FloatMode: 240
; IeeeMode: 1
; LDSByteSize: 0 bytes/workgroup (compile time only)
; SGPRBlocks: 0
; VGPRBlocks: 9
; NumSGPRsForWavesPerEU: 9
; NumVGPRsForWavesPerEU: 80
; Occupancy: 12
; WaveLimiterHint : 1
; COMPUTE_PGM_RSRC2:SCRATCH_EN: 0
; COMPUTE_PGM_RSRC2:USER_SGPR: 6
; COMPUTE_PGM_RSRC2:TRAP_HANDLER: 0
; COMPUTE_PGM_RSRC2:TGID_X_EN: 1
; COMPUTE_PGM_RSRC2:TGID_Y_EN: 0
; COMPUTE_PGM_RSRC2:TGID_Z_EN: 0
; COMPUTE_PGM_RSRC2:TIDIG_COMP_CNT: 0
	.section	.text._Z16warp_load_kernelILj256ELj32ELj32ELN6hipcub17WarpLoadAlgorithmE2EdEvPT3_S3_,"axG",@progbits,_Z16warp_load_kernelILj256ELj32ELj32ELN6hipcub17WarpLoadAlgorithmE2EdEvPT3_S3_,comdat
	.protected	_Z16warp_load_kernelILj256ELj32ELj32ELN6hipcub17WarpLoadAlgorithmE2EdEvPT3_S3_ ; -- Begin function _Z16warp_load_kernelILj256ELj32ELj32ELN6hipcub17WarpLoadAlgorithmE2EdEvPT3_S3_
	.globl	_Z16warp_load_kernelILj256ELj32ELj32ELN6hipcub17WarpLoadAlgorithmE2EdEvPT3_S3_
	.p2align	8
	.type	_Z16warp_load_kernelILj256ELj32ELj32ELN6hipcub17WarpLoadAlgorithmE2EdEvPT3_S3_,@function
_Z16warp_load_kernelILj256ELj32ELj32ELN6hipcub17WarpLoadAlgorithmE2EdEvPT3_S3_: ; @_Z16warp_load_kernelILj256ELj32ELj32ELN6hipcub17WarpLoadAlgorithmE2EdEvPT3_S3_
; %bb.0:
	s_load_dwordx4 s[0:3], s[4:5], 0x0
	v_lshlrev_b32_e32 v1, 5, v0
	s_lshl_b32 s4, s6, 13
	v_mov_b32_e32 v46, 0
	v_mbcnt_lo_u32_b32 v3, -1, 0
	v_and_or_b32 v45, 0x1c00, v1, s4
	v_mov_b32_e32 v68, v46
	v_lshlrev_b32_e32 v3, 8, v3
	v_mov_b32_e32 v72, v46
	v_lshlrev_b64 v[1:2], 3, v[45:46]
	v_or_b32_e32 v45, s4, v0
	v_mov_b32_e32 v74, v46
	v_mov_b32_e32 v76, v46
	;; [unrolled: 1-line block ×3, first 2 shown]
	v_lshlrev_b64 v[69:70], 3, v[45:46]
	v_or_b32_e32 v67, 0x100, v45
	v_or_b32_e32 v71, 0x200, v45
	s_waitcnt lgkmcnt(0)
	v_add_co_u32 v1, vcc_lo, s0, v1
	v_add_co_ci_u32_e64 v2, null, s1, v2, vcc_lo
	v_lshlrev_b64 v[67:68], 3, v[67:68]
	v_add_co_u32 v13, vcc_lo, v1, v3
	v_add_co_ci_u32_e64 v14, null, 0, v2, vcc_lo
	v_add_co_u32 v69, vcc_lo, s2, v69
	v_add_co_ci_u32_e64 v70, null, s3, v70, vcc_lo
	s_clause 0xf
	global_load_dwordx4 v[47:50], v[13:14], off
	global_load_dwordx4 v[51:54], v[13:14], off offset:16
	global_load_dwordx4 v[55:58], v[13:14], off offset:32
	;; [unrolled: 1-line block ×15, first 2 shown]
	v_add_co_u32 v67, vcc_lo, s2, v67
	v_add_co_ci_u32_e64 v68, null, s3, v68, vcc_lo
	v_or_b32_e32 v73, 0x300, v45
	v_or_b32_e32 v75, 0x400, v45
	v_or_b32_e32 v77, 0x1e00, v45
	s_waitcnt vmcnt(15)
	global_store_dwordx2 v[69:70], v[47:48], off
	v_lshlrev_b64 v[69:70], 3, v[71:72]
	v_mov_b32_e32 v48, v46
	v_or_b32_e32 v47, 0x500, v45
	v_lshlrev_b64 v[71:72], 3, v[73:74]
	global_store_dwordx2 v[67:68], v[49:50], off
	v_mov_b32_e32 v50, v46
	v_add_co_u32 v69, vcc_lo, s2, v69
	v_add_co_ci_u32_e64 v70, null, s3, v70, vcc_lo
	v_or_b32_e32 v49, 0x600, v45
	v_lshlrev_b64 v[47:48], 3, v[47:48]
	v_add_co_u32 v71, vcc_lo, s2, v71
	s_waitcnt vmcnt(14)
	global_store_dwordx2 v[69:70], v[51:52], off
	v_lshlrev_b64 v[69:70], 3, v[75:76]
	v_lshlrev_b64 v[49:50], 3, v[49:50]
	v_add_co_ci_u32_e64 v72, null, s3, v72, vcc_lo
	v_mov_b32_e32 v68, v46
	v_or_b32_e32 v67, 0x700, v45
	v_add_co_u32 v69, vcc_lo, s2, v69
	v_add_co_ci_u32_e64 v70, null, s3, v70, vcc_lo
	v_add_co_u32 v47, vcc_lo, s2, v47
	v_add_co_ci_u32_e64 v48, null, s3, v48, vcc_lo
	;; [unrolled: 2-line block ×3, first 2 shown]
	v_mov_b32_e32 v73, v46
	global_store_dwordx2 v[71:72], v[53:54], off
	v_or_b32_e32 v72, 0x800, v45
	v_mov_b32_e32 v51, v46
	s_waitcnt vmcnt(12)
	global_store_dwordx2 v[49:50], v[59:60], off
	v_or_b32_e32 v50, 0x900, v45
	v_lshlrev_b64 v[67:68], 3, v[67:68]
	v_lshlrev_b64 v[72:73], 3, v[72:73]
	v_mov_b32_e32 v53, v46
	v_or_b32_e32 v52, 0xa00, v45
	v_lshlrev_b64 v[49:50], 3, v[50:51]
	v_mov_b32_e32 v71, v46
	v_add_co_u32 v67, vcc_lo, s2, v67
	v_add_co_ci_u32_e64 v68, null, s3, v68, vcc_lo
	v_add_co_u32 v72, vcc_lo, s2, v72
	v_add_co_ci_u32_e64 v73, null, s3, v73, vcc_lo
	v_add_co_u32 v49, vcc_lo, s2, v49
	global_store_dwordx2 v[69:70], v[55:56], off
	v_add_co_ci_u32_e64 v50, null, s3, v50, vcc_lo
	v_or_b32_e32 v70, 0xb00, v45
	s_waitcnt vmcnt(11)
	global_store_dwordx2 v[72:73], v[63:64], off
	v_lshlrev_b64 v[72:73], 3, v[52:53]
	global_store_dwordx2 v[49:50], v[65:66], off
	v_mov_b32_e32 v54, v46
	v_lshlrev_b64 v[49:50], 3, v[70:71]
	v_or_b32_e32 v53, 0xc00, v45
	v_mov_b32_e32 v56, v46
	v_add_co_u32 v70, vcc_lo, s2, v72
	v_add_co_ci_u32_e64 v71, null, s3, v73, vcc_lo
	v_add_co_u32 v49, vcc_lo, s2, v49
	v_add_co_ci_u32_e64 v50, null, s3, v50, vcc_lo
	v_or_b32_e32 v55, 0xd00, v45
	v_lshlrev_b64 v[52:53], 3, v[53:54]
	global_store_dwordx2 v[47:48], v[57:58], off
	s_waitcnt vmcnt(10)
	global_store_dwordx2 v[49:50], v[43:44], off
	v_mov_b32_e32 v48, v46
	v_lshlrev_b64 v[49:50], 3, v[55:56]
	v_or_b32_e32 v47, 0xe00, v45
	v_mov_b32_e32 v57, v46
	v_or_b32_e32 v56, 0xf00, v45
	v_add_co_u32 v52, vcc_lo, s2, v52
	v_mov_b32_e32 v69, v46
	global_store_dwordx2 v[67:68], v[61:62], off
	v_or_b32_e32 v68, 0x1000, v45
	v_add_co_ci_u32_e64 v53, null, s3, v53, vcc_lo
	v_add_co_u32 v49, vcc_lo, s2, v49
	v_lshlrev_b64 v[47:48], 3, v[47:48]
	v_mov_b32_e32 v59, v46
	v_or_b32_e32 v58, 0x1100, v45
	v_add_co_ci_u32_e64 v50, null, s3, v50, vcc_lo
	v_lshlrev_b64 v[55:56], 3, v[56:57]
	v_mov_b32_e32 v61, v46
	v_or_b32_e32 v60, 0x1200, v45
	v_lshlrev_b64 v[68:69], 3, v[68:69]
	v_mov_b32_e32 v67, v46
	v_or_b32_e32 v66, 0x1300, v45
	v_lshlrev_b64 v[57:58], 3, v[58:59]
	v_add_co_u32 v47, vcc_lo, s2, v47
	s_waitcnt vmcnt(9)
	global_store_dwordx2 v[49:50], v[39:40], off
	v_or_b32_e32 v50, 0x1400, v45
	v_lshlrev_b64 v[59:60], 3, v[60:61]
	v_add_co_ci_u32_e64 v48, null, s3, v48, vcc_lo
	v_add_co_u32 v55, vcc_lo, s2, v55
	v_mov_b32_e32 v63, v46
	v_or_b32_e32 v62, 0x1500, v45
	v_lshlrev_b64 v[66:67], 3, v[66:67]
	v_add_co_ci_u32_e64 v56, null, s3, v56, vcc_lo
	v_add_co_u32 v68, vcc_lo, s2, v68
	v_mov_b32_e32 v65, v46
	v_or_b32_e32 v64, 0x1600, v45
	v_lshlrev_b64 v[49:50], 3, v[50:51]
	v_add_co_ci_u32_e64 v69, null, s3, v69, vcc_lo
	v_add_co_u32 v57, vcc_lo, s2, v57
	v_or_b32_e32 v73, 0x1700, v45
	global_store_dwordx2 v[52:53], v[37:38], off
	v_lshlrev_b64 v[51:52], 3, v[62:63]
	v_add_co_ci_u32_e64 v58, null, s3, v58, vcc_lo
	v_add_co_u32 v59, vcc_lo, s2, v59
	v_mov_b32_e32 v72, v46
	global_store_dwordx2 v[70:71], v[41:42], off
	v_or_b32_e32 v71, 0x1800, v45
	v_lshlrev_b64 v[61:62], 3, v[64:65]
	v_add_co_ci_u32_e64 v60, null, s3, v60, vcc_lo
	v_add_co_u32 v65, vcc_lo, s2, v66
	v_mov_b32_e32 v41, v46
	v_or_b32_e32 v40, 0x1900, v45
	v_lshlrev_b64 v[63:64], 3, v[73:74]
	v_add_co_ci_u32_e64 v66, null, s3, v67, vcc_lo
	v_add_co_u32 v49, vcc_lo, s2, v49
	v_mov_b32_e32 v43, v46
	v_or_b32_e32 v42, 0x1a00, v45
	v_lshlrev_b64 v[70:71], 3, v[71:72]
	v_add_co_ci_u32_e64 v50, null, s3, v50, vcc_lo
	v_add_co_u32 v51, vcc_lo, s2, v51
	v_or_b32_e32 v53, 0x1b00, v45
	v_lshlrev_b64 v[39:40], 3, v[40:41]
	v_add_co_ci_u32_e64 v52, null, s3, v52, vcc_lo
	v_add_co_u32 v61, vcc_lo, s2, v61
	;; [unrolled: 4-line block ×3, first 2 shown]
	v_mov_b32_e32 v38, v46
	v_or_b32_e32 v37, 0x1d00, v45
	v_lshlrev_b64 v[43:44], 3, v[53:54]
	v_add_co_ci_u32_e64 v64, null, s3, v64, vcc_lo
	v_add_co_u32 v70, vcc_lo, s2, v70
	v_lshlrev_b64 v[53:54], 3, v[75:76]
	v_add_co_ci_u32_e64 v71, null, s3, v71, vcc_lo
	v_add_co_u32 v39, vcc_lo, s2, v39
	v_or_b32_e32 v45, 0x1f00, v45
	v_lshlrev_b64 v[37:38], 3, v[37:38]
	v_add_co_ci_u32_e64 v40, null, s3, v40, vcc_lo
	v_add_co_u32 v41, vcc_lo, s2, v41
	v_lshlrev_b64 v[72:73], 3, v[77:78]
	v_add_co_ci_u32_e64 v42, null, s3, v42, vcc_lo
	v_add_co_u32 v43, vcc_lo, s2, v43
	;; [unrolled: 3-line block ×3, first 2 shown]
	v_add_co_ci_u32_e64 v54, null, s3, v54, vcc_lo
	v_add_co_u32 v37, vcc_lo, s2, v37
	v_add_co_ci_u32_e64 v38, null, s3, v38, vcc_lo
	v_add_co_u32 v72, vcc_lo, s2, v72
	;; [unrolled: 2-line block ×3, first 2 shown]
	v_add_co_ci_u32_e64 v46, null, s3, v46, vcc_lo
	s_waitcnt vmcnt(8)
	global_store_dwordx2 v[47:48], v[1:2], off
	global_store_dwordx2 v[55:56], v[3:4], off
	s_waitcnt vmcnt(7)
	global_store_dwordx2 v[68:69], v[5:6], off
	global_store_dwordx2 v[57:58], v[7:8], off
	;; [unrolled: 3-line block ×9, first 2 shown]
	s_endpgm
	.section	.rodata,"a",@progbits
	.p2align	6, 0x0
	.amdhsa_kernel _Z16warp_load_kernelILj256ELj32ELj32ELN6hipcub17WarpLoadAlgorithmE2EdEvPT3_S3_
		.amdhsa_group_segment_fixed_size 0
		.amdhsa_private_segment_fixed_size 0
		.amdhsa_kernarg_size 16
		.amdhsa_user_sgpr_count 6
		.amdhsa_user_sgpr_private_segment_buffer 1
		.amdhsa_user_sgpr_dispatch_ptr 0
		.amdhsa_user_sgpr_queue_ptr 0
		.amdhsa_user_sgpr_kernarg_segment_ptr 1
		.amdhsa_user_sgpr_dispatch_id 0
		.amdhsa_user_sgpr_flat_scratch_init 0
		.amdhsa_user_sgpr_private_segment_size 0
		.amdhsa_wavefront_size32 1
		.amdhsa_uses_dynamic_stack 0
		.amdhsa_system_sgpr_private_segment_wavefront_offset 0
		.amdhsa_system_sgpr_workgroup_id_x 1
		.amdhsa_system_sgpr_workgroup_id_y 0
		.amdhsa_system_sgpr_workgroup_id_z 0
		.amdhsa_system_sgpr_workgroup_info 0
		.amdhsa_system_vgpr_workitem_id 0
		.amdhsa_next_free_vgpr 79
		.amdhsa_next_free_sgpr 7
		.amdhsa_reserve_vcc 1
		.amdhsa_reserve_flat_scratch 0
		.amdhsa_float_round_mode_32 0
		.amdhsa_float_round_mode_16_64 0
		.amdhsa_float_denorm_mode_32 3
		.amdhsa_float_denorm_mode_16_64 3
		.amdhsa_dx10_clamp 1
		.amdhsa_ieee_mode 1
		.amdhsa_fp16_overflow 0
		.amdhsa_workgroup_processor_mode 1
		.amdhsa_memory_ordered 1
		.amdhsa_forward_progress 1
		.amdhsa_shared_vgpr_count 0
		.amdhsa_exception_fp_ieee_invalid_op 0
		.amdhsa_exception_fp_denorm_src 0
		.amdhsa_exception_fp_ieee_div_zero 0
		.amdhsa_exception_fp_ieee_overflow 0
		.amdhsa_exception_fp_ieee_underflow 0
		.amdhsa_exception_fp_ieee_inexact 0
		.amdhsa_exception_int_div_zero 0
	.end_amdhsa_kernel
	.section	.text._Z16warp_load_kernelILj256ELj32ELj32ELN6hipcub17WarpLoadAlgorithmE2EdEvPT3_S3_,"axG",@progbits,_Z16warp_load_kernelILj256ELj32ELj32ELN6hipcub17WarpLoadAlgorithmE2EdEvPT3_S3_,comdat
.Lfunc_end33:
	.size	_Z16warp_load_kernelILj256ELj32ELj32ELN6hipcub17WarpLoadAlgorithmE2EdEvPT3_S3_, .Lfunc_end33-_Z16warp_load_kernelILj256ELj32ELj32ELN6hipcub17WarpLoadAlgorithmE2EdEvPT3_S3_
                                        ; -- End function
	.set _Z16warp_load_kernelILj256ELj32ELj32ELN6hipcub17WarpLoadAlgorithmE2EdEvPT3_S3_.num_vgpr, 79
	.set _Z16warp_load_kernelILj256ELj32ELj32ELN6hipcub17WarpLoadAlgorithmE2EdEvPT3_S3_.num_agpr, 0
	.set _Z16warp_load_kernelILj256ELj32ELj32ELN6hipcub17WarpLoadAlgorithmE2EdEvPT3_S3_.numbered_sgpr, 7
	.set _Z16warp_load_kernelILj256ELj32ELj32ELN6hipcub17WarpLoadAlgorithmE2EdEvPT3_S3_.num_named_barrier, 0
	.set _Z16warp_load_kernelILj256ELj32ELj32ELN6hipcub17WarpLoadAlgorithmE2EdEvPT3_S3_.private_seg_size, 0
	.set _Z16warp_load_kernelILj256ELj32ELj32ELN6hipcub17WarpLoadAlgorithmE2EdEvPT3_S3_.uses_vcc, 1
	.set _Z16warp_load_kernelILj256ELj32ELj32ELN6hipcub17WarpLoadAlgorithmE2EdEvPT3_S3_.uses_flat_scratch, 0
	.set _Z16warp_load_kernelILj256ELj32ELj32ELN6hipcub17WarpLoadAlgorithmE2EdEvPT3_S3_.has_dyn_sized_stack, 0
	.set _Z16warp_load_kernelILj256ELj32ELj32ELN6hipcub17WarpLoadAlgorithmE2EdEvPT3_S3_.has_recursion, 0
	.set _Z16warp_load_kernelILj256ELj32ELj32ELN6hipcub17WarpLoadAlgorithmE2EdEvPT3_S3_.has_indirect_call, 0
	.section	.AMDGPU.csdata,"",@progbits
; Kernel info:
; codeLenInByte = 1664
; TotalNumSgprs: 9
; NumVgprs: 79
; ScratchSize: 0
; MemoryBound: 1
; FloatMode: 240
; IeeeMode: 1
; LDSByteSize: 0 bytes/workgroup (compile time only)
; SGPRBlocks: 0
; VGPRBlocks: 9
; NumSGPRsForWavesPerEU: 9
; NumVGPRsForWavesPerEU: 79
; Occupancy: 12
; WaveLimiterHint : 1
; COMPUTE_PGM_RSRC2:SCRATCH_EN: 0
; COMPUTE_PGM_RSRC2:USER_SGPR: 6
; COMPUTE_PGM_RSRC2:TRAP_HANDLER: 0
; COMPUTE_PGM_RSRC2:TGID_X_EN: 1
; COMPUTE_PGM_RSRC2:TGID_Y_EN: 0
; COMPUTE_PGM_RSRC2:TGID_Z_EN: 0
; COMPUTE_PGM_RSRC2:TIDIG_COMP_CNT: 0
	.section	.text._Z16warp_load_kernelILj256ELj64ELj32ELN6hipcub17WarpLoadAlgorithmE0EdEvPT3_S3_,"axG",@progbits,_Z16warp_load_kernelILj256ELj64ELj32ELN6hipcub17WarpLoadAlgorithmE0EdEvPT3_S3_,comdat
	.protected	_Z16warp_load_kernelILj256ELj64ELj32ELN6hipcub17WarpLoadAlgorithmE0EdEvPT3_S3_ ; -- Begin function _Z16warp_load_kernelILj256ELj64ELj32ELN6hipcub17WarpLoadAlgorithmE0EdEvPT3_S3_
	.globl	_Z16warp_load_kernelILj256ELj64ELj32ELN6hipcub17WarpLoadAlgorithmE0EdEvPT3_S3_
	.p2align	8
	.type	_Z16warp_load_kernelILj256ELj64ELj32ELN6hipcub17WarpLoadAlgorithmE0EdEvPT3_S3_,@function
_Z16warp_load_kernelILj256ELj64ELj32ELN6hipcub17WarpLoadAlgorithmE0EdEvPT3_S3_: ; @_Z16warp_load_kernelILj256ELj64ELj32ELN6hipcub17WarpLoadAlgorithmE0EdEvPT3_S3_
; %bb.0:
	s_load_dwordx4 s[0:3], s[4:5], 0x0
	v_lshlrev_b32_e32 v1, 6, v0
	s_lshl_b32 s4, s6, 14
	v_mov_b32_e32 v109, 0
	v_mbcnt_lo_u32_b32 v3, -1, 0
	v_and_or_b32 v108, 0x3800, v1, s4
	v_mov_b32_e32 v131, v109
	v_lshlrev_b32_e32 v3, 9, v3
	v_mov_b32_e32 v133, v109
	v_lshlrev_b64 v[1:2], 3, v[108:109]
	v_or_b32_e32 v108, s4, v0
	v_mov_b32_e32 v135, v109
	v_mov_b32_e32 v140, v109
	;; [unrolled: 1-line block ×3, first 2 shown]
	v_or_b32_e32 v0, 0x100, v108
	v_or_b32_e32 v130, 0x200, v108
	;; [unrolled: 1-line block ×3, first 2 shown]
	s_waitcnt lgkmcnt(0)
	v_add_co_u32 v1, vcc_lo, s0, v1
	v_add_co_ci_u32_e64 v2, null, s1, v2, vcc_lo
	v_lshlrev_b64 v[130:131], 3, v[130:131]
	v_add_co_u32 v12, vcc_lo, v1, v3
	v_add_co_ci_u32_e64 v13, null, 0, v2, vcc_lo
	v_mov_b32_e32 v1, v109
	v_lshlrev_b64 v[2:3], 3, v[108:109]
	v_or_b32_e32 v134, 0x400, v108
	s_clause 0x13
	global_load_dwordx4 v[110:113], v[12:13], off
	global_load_dwordx4 v[114:117], v[12:13], off offset:16
	global_load_dwordx4 v[118:121], v[12:13], off offset:32
	;; [unrolled: 1-line block ×19, first 2 shown]
	v_lshlrev_b64 v[0:1], 3, v[0:1]
	v_lshlrev_b64 v[132:133], 3, v[132:133]
	v_add_co_u32 v136, vcc_lo, s2, v2
	v_add_co_ci_u32_e64 v137, null, s3, v3, vcc_lo
	v_add_co_u32 v138, vcc_lo, s2, v0
	v_add_co_ci_u32_e64 v139, null, s3, v1, vcc_lo
	s_clause 0xb
	global_load_dwordx4 v[28:31], v[12:13], off offset:368
	global_load_dwordx4 v[36:39], v[12:13], off offset:352
	;; [unrolled: 1-line block ×12, first 2 shown]
	v_add_co_u32 v130, vcc_lo, s2, v130
	v_add_co_ci_u32_e64 v131, null, s3, v131, vcc_lo
	v_add_co_u32 v132, vcc_lo, s2, v132
	v_add_co_ci_u32_e64 v133, null, s3, v133, vcc_lo
	v_or_b32_e32 v141, 0x2700, v108
	s_waitcnt vmcnt(31)
	global_store_dwordx2 v[136:137], v[110:111], off
	v_mov_b32_e32 v111, v109
	v_or_b32_e32 v110, 0x500, v108
	global_store_dwordx2 v[138:139], v[112:113], off
	v_mov_b32_e32 v113, v109
	v_or_b32_e32 v112, 0x600, v108
	s_waitcnt vmcnt(30)
	global_store_dwordx2 v[130:131], v[114:115], off
	v_lshlrev_b64 v[130:131], 3, v[134:135]
	v_lshlrev_b64 v[110:111], 3, v[110:111]
	v_mov_b32_e32 v136, v109
	v_lshlrev_b64 v[112:113], 3, v[112:113]
	v_or_b32_e32 v135, 0x700, v108
	v_mov_b32_e32 v138, v109
	v_add_co_u32 v130, vcc_lo, s2, v130
	v_add_co_ci_u32_e64 v131, null, s3, v131, vcc_lo
	v_add_co_u32 v110, vcc_lo, s2, v110
	v_add_co_ci_u32_e64 v111, null, s3, v111, vcc_lo
	;; [unrolled: 2-line block ×3, first 2 shown]
	v_or_b32_e32 v137, 0x800, v108
	v_mov_b32_e32 v114, v109
	s_waitcnt vmcnt(29)
	global_store_dwordx2 v[130:131], v[118:119], off
	v_lshlrev_b64 v[130:131], 3, v[135:136]
	s_waitcnt vmcnt(28)
	global_store_dwordx2 v[112:113], v[122:123], off
	v_or_b32_e32 v113, 0x900, v108
	global_store_dwordx2 v[110:111], v[120:121], off
	v_lshlrev_b64 v[121:122], 3, v[137:138]
	global_store_dwordx2 v[132:133], v[116:117], off
	v_add_co_u32 v130, vcc_lo, s2, v130
	v_lshlrev_b64 v[113:114], 3, v[113:114]
	v_add_co_ci_u32_e64 v131, null, s3, v131, vcc_lo
	v_add_co_u32 v121, vcc_lo, s2, v121
	v_mov_b32_e32 v116, v109
	v_or_b32_e32 v115, 0xa00, v108
	v_add_co_ci_u32_e64 v122, null, s3, v122, vcc_lo
	v_add_co_u32 v113, vcc_lo, s2, v113
	v_mov_b32_e32 v132, v109
	global_store_dwordx2 v[130:131], v[124:125], off
	v_add_co_ci_u32_e64 v114, null, s3, v114, vcc_lo
	v_or_b32_e32 v131, 0xb00, v108
	s_waitcnt vmcnt(27)
	global_store_dwordx2 v[121:122], v[126:127], off
	v_lshlrev_b64 v[126:127], 3, v[115:116]
	v_mov_b32_e32 v117, v109
	global_store_dwordx2 v[113:114], v[128:129], off
	v_or_b32_e32 v116, 0xc00, v108
	v_lshlrev_b64 v[128:129], 3, v[131:132]
	v_mov_b32_e32 v119, v109
	v_or_b32_e32 v118, 0xd00, v108
	v_add_co_u32 v126, vcc_lo, s2, v126
	v_lshlrev_b64 v[116:117], 3, v[116:117]
	v_add_co_ci_u32_e64 v127, null, s3, v127, vcc_lo
	v_add_co_u32 v128, vcc_lo, s2, v128
	v_lshlrev_b64 v[118:119], 3, v[118:119]
	v_add_co_ci_u32_e64 v129, null, s3, v129, vcc_lo
	v_add_co_u32 v116, vcc_lo, s2, v116
	v_mov_b32_e32 v111, v109
	s_waitcnt vmcnt(26)
	global_store_dwordx2 v[128:129], v[106:107], off
	v_or_b32_e32 v110, 0xe00, v108
	v_add_co_ci_u32_e64 v117, null, s3, v117, vcc_lo
	v_add_co_u32 v128, vcc_lo, s2, v118
	v_mov_b32_e32 v120, v109
	v_add_co_ci_u32_e64 v129, null, s3, v119, vcc_lo
	v_or_b32_e32 v119, 0xf00, v108
	v_lshlrev_b64 v[110:111], 3, v[110:111]
	s_waitcnt vmcnt(25)
	global_store_dwordx2 v[116:117], v[96:97], off
	v_mov_b32_e32 v133, v109
	v_or_b32_e32 v132, 0x1000, v108
	v_lshlrev_b64 v[116:117], 3, v[119:120]
	v_mov_b32_e32 v112, v109
	v_add_co_u32 v119, vcc_lo, s2, v110
	v_add_co_ci_u32_e64 v120, null, s3, v111, vcc_lo
	v_add_co_u32 v116, vcc_lo, s2, v116
	global_store_dwordx2 v[128:129], v[98:99], off
	v_or_b32_e32 v111, 0x1100, v108
	v_lshlrev_b64 v[128:129], 3, v[132:133]
	v_add_co_ci_u32_e64 v117, null, s3, v117, vcc_lo
	v_mov_b32_e32 v123, v109
	v_or_b32_e32 v122, 0x1200, v108
	v_lshlrev_b64 v[110:111], 3, v[111:112]
	v_mov_b32_e32 v125, v109
	s_waitcnt vmcnt(24)
	global_store_dwordx2 v[116:117], v[66:67], off
	v_add_co_u32 v116, vcc_lo, s2, v128
	v_or_b32_e32 v124, 0x1300, v108
	v_mov_b32_e32 v130, v109
	v_add_co_ci_u32_e64 v117, null, s3, v129, vcc_lo
	v_or_b32_e32 v129, 0x1400, v108
	v_lshlrev_b64 v[122:123], 3, v[122:123]
	v_mov_b32_e32 v121, v109
	global_store_dwordx2 v[119:120], v[64:65], off
	v_or_b32_e32 v120, 0x1500, v108
	v_add_co_u32 v110, vcc_lo, s2, v110
	v_lshlrev_b64 v[124:125], 3, v[124:125]
	v_mov_b32_e32 v113, v109
	v_or_b32_e32 v112, 0x1600, v108
	v_add_co_ci_u32_e64 v111, null, s3, v111, vcc_lo
	v_lshlrev_b64 v[128:129], 3, v[129:130]
	v_mov_b32_e32 v115, v109
	v_or_b32_e32 v114, 0x1700, v108
	v_lshlrev_b64 v[119:120], 3, v[120:121]
	v_add_co_u32 v121, vcc_lo, s2, v122
	v_mov_b32_e32 v134, v109
	v_mov_b32_e32 v118, v109
	s_waitcnt vmcnt(23)
	global_store_dwordx2 v[116:117], v[100:101], off
	v_or_b32_e32 v133, 0x1800, v108
	v_or_b32_e32 v117, 0x1c00, v108
	v_lshlrev_b64 v[112:113], 3, v[112:113]
	v_add_co_ci_u32_e64 v122, null, s3, v123, vcc_lo
	v_add_co_u32 v123, vcc_lo, s2, v124
	global_store_dwordx2 v[126:127], v[104:105], off
	v_mov_b32_e32 v104, v109
	global_store_dwordx2 v[110:111], v[102:103], off
	v_or_b32_e32 v103, 0x1900, v108
	v_lshlrev_b64 v[114:115], 3, v[114:115]
	v_add_co_ci_u32_e64 v124, null, s3, v125, vcc_lo
	v_add_co_u32 v128, vcc_lo, s2, v128
	v_mov_b32_e32 v106, v109
	v_or_b32_e32 v105, 0x1a00, v108
	v_lshlrev_b64 v[133:134], 3, v[133:134]
	v_lshlrev_b64 v[116:117], 3, v[117:118]
	v_add_co_ci_u32_e64 v129, null, s3, v129, vcc_lo
	v_add_co_u32 v118, vcc_lo, s2, v119
	v_mov_b32_e32 v127, v109
	v_mov_b32_e32 v132, v109
	v_or_b32_e32 v126, 0x1b00, v108
	v_or_b32_e32 v131, 0x2300, v108
	v_lshlrev_b64 v[102:103], 3, v[103:104]
	v_add_co_ci_u32_e64 v119, null, s3, v120, vcc_lo
	v_add_co_u32 v112, vcc_lo, s2, v112
	v_lshlrev_b64 v[104:105], 3, v[105:106]
	v_add_co_ci_u32_e64 v113, null, s3, v113, vcc_lo
	v_add_co_u32 v114, vcc_lo, s2, v114
	v_mov_b32_e32 v97, v109
	v_or_b32_e32 v96, 0x1d00, v108
	v_lshlrev_b64 v[106:107], 3, v[126:127]
	v_lshlrev_b64 v[130:131], 3, v[131:132]
	v_add_co_ci_u32_e64 v115, null, s3, v115, vcc_lo
	v_add_co_u32 v132, vcc_lo, s2, v133
	v_mov_b32_e32 v99, v109
	v_or_b32_e32 v98, 0x1e00, v108
	v_add_co_ci_u32_e64 v133, null, s3, v134, vcc_lo
	v_add_co_u32 v102, vcc_lo, s2, v102
	v_or_b32_e32 v135, 0x1f00, v108
	v_lshlrev_b64 v[96:97], 3, v[96:97]
	v_add_co_ci_u32_e64 v103, null, s3, v103, vcc_lo
	v_add_co_u32 v104, vcc_lo, s2, v104
	v_or_b32_e32 v137, 0x2000, v108
	v_lshlrev_b64 v[98:99], 3, v[98:99]
	v_add_co_ci_u32_e64 v105, null, s3, v105, vcc_lo
	v_add_co_u32 v106, vcc_lo, s2, v106
	v_mov_b32_e32 v65, v109
	v_or_b32_e32 v64, 0x2100, v108
	v_lshlrev_b64 v[126:127], 3, v[135:136]
	v_add_co_ci_u32_e64 v107, null, s3, v107, vcc_lo
	v_add_co_u32 v116, vcc_lo, s2, v116
	v_mov_b32_e32 v67, v109
	v_or_b32_e32 v66, 0x2200, v108
	v_lshlrev_b64 v[135:136], 3, v[137:138]
	v_add_co_ci_u32_e64 v117, null, s3, v117, vcc_lo
	v_add_co_u32 v96, vcc_lo, s2, v96
	v_lshlrev_b64 v[64:65], 3, v[64:65]
	v_add_co_ci_u32_e64 v97, null, s3, v97, vcc_lo
	v_add_co_u32 v98, vcc_lo, s2, v98
	v_or_b32_e32 v139, 0x2400, v108
	v_lshlrev_b64 v[66:67], 3, v[66:67]
	v_add_co_ci_u32_e64 v99, null, s3, v99, vcc_lo
	v_add_co_u32 v125, vcc_lo, s2, v126
	v_add_co_ci_u32_e64 v126, null, s3, v127, vcc_lo
	v_add_co_u32 v134, vcc_lo, s2, v135
	v_lshlrev_b64 v[137:138], 3, v[139:140]
	v_add_co_ci_u32_e64 v135, null, s3, v136, vcc_lo
	v_add_co_u32 v64, vcc_lo, s2, v64
	v_mov_b32_e32 v101, v109
	v_or_b32_e32 v100, 0x2500, v108
	v_add_co_ci_u32_e64 v65, null, s3, v65, vcc_lo
	v_add_co_u32 v66, vcc_lo, s2, v66
	v_mov_b32_e32 v111, v109
	v_or_b32_e32 v110, 0x2600, v108
	v_add_co_ci_u32_e64 v67, null, s3, v67, vcc_lo
	v_add_co_u32 v130, vcc_lo, s2, v130
	v_lshlrev_b64 v[100:101], 3, v[100:101]
	v_add_co_ci_u32_e64 v131, null, s3, v131, vcc_lo
	v_add_co_u32 v136, vcc_lo, s2, v137
	v_add_co_ci_u32_e64 v137, null, s3, v138, vcc_lo
	s_waitcnt vmcnt(22)
	global_store_dwordx2 v[121:122], v[52:53], off
	global_store_dwordx2 v[123:124], v[54:55], off
	s_waitcnt vmcnt(21)
	global_store_dwordx2 v[128:129], v[60:61], off
	global_store_dwordx2 v[118:119], v[62:63], off
	;; [unrolled: 3-line block ×9, first 2 shown]
	s_waitcnt vmcnt(13)
	global_store_dwordx2 v[136:137], v[68:69], off
	v_lshlrev_b64 v[52:53], 3, v[110:111]
	v_lshlrev_b64 v[54:55], 3, v[141:142]
	v_or_b32_e32 v56, 0x2800, v108
	v_mov_b32_e32 v57, v109
	v_add_co_u32 v100, vcc_lo, s2, v100
	v_add_co_ci_u32_e64 v101, null, s3, v101, vcc_lo
	v_add_co_u32 v52, vcc_lo, s2, v52
	v_add_co_ci_u32_e64 v53, null, s3, v53, vcc_lo
	v_lshlrev_b64 v[56:57], 3, v[56:57]
	v_add_co_u32 v54, vcc_lo, s2, v54
	v_or_b32_e32 v58, 0x2900, v108
	v_mov_b32_e32 v59, v109
	v_add_co_ci_u32_e64 v55, null, s3, v55, vcc_lo
	v_or_b32_e32 v60, 0x2a00, v108
	v_mov_b32_e32 v61, v109
	global_store_dwordx2 v[100:101], v[70:71], off
	v_add_co_u32 v56, vcc_lo, s2, v56
	s_waitcnt vmcnt(12)
	global_store_dwordx2 v[52:53], v[40:41], off
	global_store_dwordx2 v[54:55], v[42:43], off
	v_lshlrev_b64 v[40:41], 3, v[58:59]
	v_add_co_ci_u32_e64 v57, null, s3, v57, vcc_lo
	v_lshlrev_b64 v[42:43], 3, v[60:61]
	v_or_b32_e32 v52, 0x2c00, v108
	v_mov_b32_e32 v53, v109
	v_add_co_u32 v40, vcc_lo, s2, v40
	s_waitcnt vmcnt(8)
	global_store_dwordx2 v[56:57], v[48:49], off
	v_or_b32_e32 v48, 0x2b00, v108
	v_mov_b32_e32 v49, v109
	v_add_co_ci_u32_e64 v41, null, s3, v41, vcc_lo
	v_add_co_u32 v42, vcc_lo, s2, v42
	v_add_co_ci_u32_e64 v43, null, s3, v43, vcc_lo
	v_lshlrev_b64 v[48:49], 3, v[48:49]
	v_or_b32_e32 v54, 0x2d00, v108
	v_mov_b32_e32 v55, v109
	global_store_dwordx2 v[40:41], v[50:51], off
	global_store_dwordx2 v[42:43], v[44:45], off
	v_or_b32_e32 v44, 0x2e00, v108
	v_mov_b32_e32 v45, v109
	v_lshlrev_b64 v[40:41], 3, v[52:53]
	v_lshlrev_b64 v[42:43], 3, v[54:55]
	v_add_co_u32 v48, vcc_lo, s2, v48
	v_lshlrev_b64 v[44:45], 3, v[44:45]
	v_add_co_ci_u32_e64 v49, null, s3, v49, vcc_lo
	v_add_co_u32 v40, vcc_lo, s2, v40
	v_add_co_ci_u32_e64 v41, null, s3, v41, vcc_lo
	v_add_co_u32 v42, vcc_lo, s2, v42
	global_store_dwordx2 v[48:49], v[46:47], off
	v_add_co_ci_u32_e64 v43, null, s3, v43, vcc_lo
	v_add_co_u32 v44, vcc_lo, s2, v44
	v_or_b32_e32 v46, 0x2f00, v108
	v_mov_b32_e32 v47, v109
	v_add_co_ci_u32_e64 v45, null, s3, v45, vcc_lo
	v_or_b32_e32 v48, 0x3000, v108
	v_mov_b32_e32 v49, v109
	global_store_dwordx2 v[40:41], v[36:37], off
	global_store_dwordx2 v[42:43], v[38:39], off
	v_lshlrev_b64 v[36:37], 3, v[46:47]
	global_store_dwordx2 v[44:45], v[28:29], off
	v_or_b32_e32 v38, 0x3100, v108
	v_lshlrev_b64 v[28:29], 3, v[48:49]
	v_mov_b32_e32 v39, v109
	v_or_b32_e32 v40, 0x3200, v108
	v_add_co_u32 v36, vcc_lo, s2, v36
	v_add_co_ci_u32_e64 v37, null, s3, v37, vcc_lo
	v_add_co_u32 v28, vcc_lo, s2, v28
	v_add_co_ci_u32_e64 v29, null, s3, v29, vcc_lo
	v_mov_b32_e32 v41, v109
	v_lshlrev_b64 v[38:39], 3, v[38:39]
	v_or_b32_e32 v42, 0x3300, v108
	v_mov_b32_e32 v43, v109
	global_store_dwordx2 v[36:37], v[30:31], off
	s_waitcnt vmcnt(4)
	global_store_dwordx2 v[28:29], v[32:33], off
	v_or_b32_e32 v32, 0x3400, v108
	v_mov_b32_e32 v33, v109
	v_lshlrev_b64 v[28:29], 3, v[40:41]
	v_lshlrev_b64 v[30:31], 3, v[42:43]
	v_add_co_u32 v38, vcc_lo, s2, v38
	v_lshlrev_b64 v[32:33], 3, v[32:33]
	v_add_co_ci_u32_e64 v39, null, s3, v39, vcc_lo
	v_add_co_u32 v28, vcc_lo, s2, v28
	v_add_co_ci_u32_e64 v29, null, s3, v29, vcc_lo
	v_add_co_u32 v30, vcc_lo, s2, v30
	global_store_dwordx2 v[38:39], v[34:35], off
	v_add_co_ci_u32_e64 v31, null, s3, v31, vcc_lo
	v_add_co_u32 v32, vcc_lo, s2, v32
	v_or_b32_e32 v34, 0x3500, v108
	v_mov_b32_e32 v35, v109
	v_add_co_ci_u32_e64 v33, null, s3, v33, vcc_lo
	v_or_b32_e32 v36, 0x3600, v108
	v_mov_b32_e32 v37, v109
	global_store_dwordx2 v[28:29], v[24:25], off
	global_store_dwordx2 v[30:31], v[26:27], off
	v_or_b32_e32 v26, 0x3700, v108
	v_mov_b32_e32 v27, v109
	v_lshlrev_b64 v[24:25], 3, v[34:35]
	global_store_dwordx2 v[32:33], v[20:21], off
	v_lshlrev_b64 v[20:21], 3, v[36:37]
	v_or_b32_e32 v28, 0x3800, v108
	v_lshlrev_b64 v[26:27], 3, v[26:27]
	v_mov_b32_e32 v29, v109
	v_add_co_u32 v24, vcc_lo, s2, v24
	v_add_co_ci_u32_e64 v25, null, s3, v25, vcc_lo
	v_add_co_u32 v20, vcc_lo, s2, v20
	v_add_co_ci_u32_e64 v21, null, s3, v21, vcc_lo
	;; [unrolled: 2-line block ×3, first 2 shown]
	v_or_b32_e32 v30, 0x3900, v108
	v_mov_b32_e32 v31, v109
	global_store_dwordx2 v[24:25], v[22:23], off
	global_store_dwordx2 v[20:21], v[16:17], off
	v_or_b32_e32 v20, 0x3a00, v108
	v_mov_b32_e32 v21, v109
	v_lshlrev_b64 v[16:17], 3, v[28:29]
	global_store_dwordx2 v[26:27], v[18:19], off
	v_lshlrev_b64 v[18:19], 3, v[30:31]
	v_or_b32_e32 v22, 0x3b00, v108
	v_lshlrev_b64 v[20:21], 3, v[20:21]
	v_mov_b32_e32 v23, v109
	v_add_co_u32 v16, vcc_lo, s2, v16
	v_add_co_ci_u32_e64 v17, null, s3, v17, vcc_lo
	v_add_co_u32 v18, vcc_lo, s2, v18
	v_add_co_ci_u32_e64 v19, null, s3, v19, vcc_lo
	;; [unrolled: 2-line block ×3, first 2 shown]
	v_or_b32_e32 v24, 0x3c00, v108
	v_mov_b32_e32 v25, v109
	s_waitcnt vmcnt(0)
	global_store_dwordx2 v[16:17], v[12:13], off
	global_store_dwordx2 v[18:19], v[14:15], off
	v_or_b32_e32 v14, 0x3d00, v108
	v_mov_b32_e32 v15, v109
	v_lshlrev_b64 v[12:13], 3, v[22:23]
	v_or_b32_e32 v16, 0x3e00, v108
	v_mov_b32_e32 v17, v109
	global_store_dwordx2 v[20:21], v[8:9], off
	v_lshlrev_b64 v[8:9], 3, v[24:25]
	v_or_b32_e32 v108, 0x3f00, v108
	v_lshlrev_b64 v[14:15], 3, v[14:15]
	v_add_co_u32 v12, vcc_lo, s2, v12
	v_lshlrev_b64 v[16:17], 3, v[16:17]
	v_add_co_ci_u32_e64 v13, null, s3, v13, vcc_lo
	v_add_co_u32 v8, vcc_lo, s2, v8
	v_lshlrev_b64 v[18:19], 3, v[108:109]
	v_add_co_ci_u32_e64 v9, null, s3, v9, vcc_lo
	v_add_co_u32 v14, vcc_lo, s2, v14
	v_add_co_ci_u32_e64 v15, null, s3, v15, vcc_lo
	v_add_co_u32 v16, vcc_lo, s2, v16
	;; [unrolled: 2-line block ×3, first 2 shown]
	v_add_co_ci_u32_e64 v19, null, s3, v19, vcc_lo
	global_store_dwordx2 v[12:13], v[10:11], off
	global_store_dwordx2 v[8:9], v[4:5], off
	;; [unrolled: 1-line block ×5, first 2 shown]
	s_endpgm
	.section	.rodata,"a",@progbits
	.p2align	6, 0x0
	.amdhsa_kernel _Z16warp_load_kernelILj256ELj64ELj32ELN6hipcub17WarpLoadAlgorithmE0EdEvPT3_S3_
		.amdhsa_group_segment_fixed_size 0
		.amdhsa_private_segment_fixed_size 0
		.amdhsa_kernarg_size 16
		.amdhsa_user_sgpr_count 6
		.amdhsa_user_sgpr_private_segment_buffer 1
		.amdhsa_user_sgpr_dispatch_ptr 0
		.amdhsa_user_sgpr_queue_ptr 0
		.amdhsa_user_sgpr_kernarg_segment_ptr 1
		.amdhsa_user_sgpr_dispatch_id 0
		.amdhsa_user_sgpr_flat_scratch_init 0
		.amdhsa_user_sgpr_private_segment_size 0
		.amdhsa_wavefront_size32 1
		.amdhsa_uses_dynamic_stack 0
		.amdhsa_system_sgpr_private_segment_wavefront_offset 0
		.amdhsa_system_sgpr_workgroup_id_x 1
		.amdhsa_system_sgpr_workgroup_id_y 0
		.amdhsa_system_sgpr_workgroup_id_z 0
		.amdhsa_system_sgpr_workgroup_info 0
		.amdhsa_system_vgpr_workitem_id 0
		.amdhsa_next_free_vgpr 143
		.amdhsa_next_free_sgpr 7
		.amdhsa_reserve_vcc 1
		.amdhsa_reserve_flat_scratch 0
		.amdhsa_float_round_mode_32 0
		.amdhsa_float_round_mode_16_64 0
		.amdhsa_float_denorm_mode_32 3
		.amdhsa_float_denorm_mode_16_64 3
		.amdhsa_dx10_clamp 1
		.amdhsa_ieee_mode 1
		.amdhsa_fp16_overflow 0
		.amdhsa_workgroup_processor_mode 1
		.amdhsa_memory_ordered 1
		.amdhsa_forward_progress 1
		.amdhsa_shared_vgpr_count 0
		.amdhsa_exception_fp_ieee_invalid_op 0
		.amdhsa_exception_fp_denorm_src 0
		.amdhsa_exception_fp_ieee_div_zero 0
		.amdhsa_exception_fp_ieee_overflow 0
		.amdhsa_exception_fp_ieee_underflow 0
		.amdhsa_exception_fp_ieee_inexact 0
		.amdhsa_exception_int_div_zero 0
	.end_amdhsa_kernel
	.section	.text._Z16warp_load_kernelILj256ELj64ELj32ELN6hipcub17WarpLoadAlgorithmE0EdEvPT3_S3_,"axG",@progbits,_Z16warp_load_kernelILj256ELj64ELj32ELN6hipcub17WarpLoadAlgorithmE0EdEvPT3_S3_,comdat
.Lfunc_end34:
	.size	_Z16warp_load_kernelILj256ELj64ELj32ELN6hipcub17WarpLoadAlgorithmE0EdEvPT3_S3_, .Lfunc_end34-_Z16warp_load_kernelILj256ELj64ELj32ELN6hipcub17WarpLoadAlgorithmE0EdEvPT3_S3_
                                        ; -- End function
	.set _Z16warp_load_kernelILj256ELj64ELj32ELN6hipcub17WarpLoadAlgorithmE0EdEvPT3_S3_.num_vgpr, 143
	.set _Z16warp_load_kernelILj256ELj64ELj32ELN6hipcub17WarpLoadAlgorithmE0EdEvPT3_S3_.num_agpr, 0
	.set _Z16warp_load_kernelILj256ELj64ELj32ELN6hipcub17WarpLoadAlgorithmE0EdEvPT3_S3_.numbered_sgpr, 7
	.set _Z16warp_load_kernelILj256ELj64ELj32ELN6hipcub17WarpLoadAlgorithmE0EdEvPT3_S3_.num_named_barrier, 0
	.set _Z16warp_load_kernelILj256ELj64ELj32ELN6hipcub17WarpLoadAlgorithmE0EdEvPT3_S3_.private_seg_size, 0
	.set _Z16warp_load_kernelILj256ELj64ELj32ELN6hipcub17WarpLoadAlgorithmE0EdEvPT3_S3_.uses_vcc, 1
	.set _Z16warp_load_kernelILj256ELj64ELj32ELN6hipcub17WarpLoadAlgorithmE0EdEvPT3_S3_.uses_flat_scratch, 0
	.set _Z16warp_load_kernelILj256ELj64ELj32ELN6hipcub17WarpLoadAlgorithmE0EdEvPT3_S3_.has_dyn_sized_stack, 0
	.set _Z16warp_load_kernelILj256ELj64ELj32ELN6hipcub17WarpLoadAlgorithmE0EdEvPT3_S3_.has_recursion, 0
	.set _Z16warp_load_kernelILj256ELj64ELj32ELN6hipcub17WarpLoadAlgorithmE0EdEvPT3_S3_.has_indirect_call, 0
	.section	.AMDGPU.csdata,"",@progbits
; Kernel info:
; codeLenInByte = 3244
; TotalNumSgprs: 9
; NumVgprs: 143
; ScratchSize: 0
; MemoryBound: 1
; FloatMode: 240
; IeeeMode: 1
; LDSByteSize: 0 bytes/workgroup (compile time only)
; SGPRBlocks: 0
; VGPRBlocks: 17
; NumSGPRsForWavesPerEU: 9
; NumVGPRsForWavesPerEU: 143
; Occupancy: 7
; WaveLimiterHint : 1
; COMPUTE_PGM_RSRC2:SCRATCH_EN: 0
; COMPUTE_PGM_RSRC2:USER_SGPR: 6
; COMPUTE_PGM_RSRC2:TRAP_HANDLER: 0
; COMPUTE_PGM_RSRC2:TGID_X_EN: 1
; COMPUTE_PGM_RSRC2:TGID_Y_EN: 0
; COMPUTE_PGM_RSRC2:TGID_Z_EN: 0
; COMPUTE_PGM_RSRC2:TIDIG_COMP_CNT: 0
	.section	.text._Z16warp_load_kernelILj256ELj64ELj32ELN6hipcub17WarpLoadAlgorithmE1EdEvPT3_S3_,"axG",@progbits,_Z16warp_load_kernelILj256ELj64ELj32ELN6hipcub17WarpLoadAlgorithmE1EdEvPT3_S3_,comdat
	.protected	_Z16warp_load_kernelILj256ELj64ELj32ELN6hipcub17WarpLoadAlgorithmE1EdEvPT3_S3_ ; -- Begin function _Z16warp_load_kernelILj256ELj64ELj32ELN6hipcub17WarpLoadAlgorithmE1EdEvPT3_S3_
	.globl	_Z16warp_load_kernelILj256ELj64ELj32ELN6hipcub17WarpLoadAlgorithmE1EdEvPT3_S3_
	.p2align	8
	.type	_Z16warp_load_kernelILj256ELj64ELj32ELN6hipcub17WarpLoadAlgorithmE1EdEvPT3_S3_,@function
_Z16warp_load_kernelILj256ELj64ELj32ELN6hipcub17WarpLoadAlgorithmE1EdEvPT3_S3_: ; @_Z16warp_load_kernelILj256ELj64ELj32ELN6hipcub17WarpLoadAlgorithmE1EdEvPT3_S3_
; %bb.0:
	s_load_dwordx4 s[0:3], s[4:5], 0x0
	v_lshlrev_b32_e32 v1, 6, v0
	s_lshl_b32 s4, s6, 14
	v_mov_b32_e32 v2, 0
	v_mbcnt_lo_u32_b32 v5, -1, 0
	v_and_or_b32 v1, 0x3800, v1, s4
	v_mov_b32_e32 v132, v2
	v_mov_b32_e32 v134, v2
	;; [unrolled: 1-line block ×3, first 2 shown]
	v_lshlrev_b64 v[3:4], 3, v[1:2]
	v_lshlrev_b32_e32 v1, 3, v5
	v_mov_b32_e32 v142, v2
	s_waitcnt lgkmcnt(0)
	v_add_co_u32 v3, vcc_lo, s0, v3
	v_add_co_ci_u32_e64 v4, null, s1, v4, vcc_lo
	v_add_co_u32 v3, vcc_lo, v3, v1
	v_add_co_ci_u32_e64 v4, null, 0, v4, vcc_lo
	v_or_b32_e32 v1, s4, v0
	v_add_co_u32 v5, vcc_lo, v3, 0x1000
	s_clause 0x7
	global_load_dwordx2 v[113:114], v[3:4], off
	global_load_dwordx2 v[115:116], v[3:4], off offset:256
	global_load_dwordx2 v[117:118], v[3:4], off offset:512
	;; [unrolled: 1-line block ×7, first 2 shown]
	v_add_co_ci_u32_e64 v6, null, 0, v4, vcc_lo
	v_add_co_u32 v7, vcc_lo, 0x800, v3
	v_add_co_ci_u32_e64 v8, null, 0, v4, vcc_lo
	s_clause 0x4
	global_load_dwordx2 v[129:130], v[5:6], off offset:-2048
	global_load_dwordx2 v[109:110], v[7:8], off offset:256
	global_load_dwordx2 v[89:90], v[7:8], off offset:512
	;; [unrolled: 1-line block ×4, first 2 shown]
	v_add_co_u32 v9, vcc_lo, 0x1000, v3
	v_add_co_ci_u32_e64 v10, null, 0, v4, vcc_lo
	v_add_co_u32 v11, vcc_lo, 0x1800, v3
	v_add_co_ci_u32_e64 v12, null, 0, v4, vcc_lo
	;; [unrolled: 2-line block ×3, first 2 shown]
	s_clause 0x12
	global_load_dwordx2 v[65:66], v[7:8], off offset:1280
	global_load_dwordx2 v[67:68], v[7:8], off offset:1536
	;; [unrolled: 1-line block ×3, first 2 shown]
	global_load_dwordx2 v[71:72], v[5:6], off
	global_load_dwordx2 v[73:74], v[9:10], off offset:256
	global_load_dwordx2 v[75:76], v[9:10], off offset:512
	;; [unrolled: 1-line block ×7, first 2 shown]
	global_load_dwordx2 v[103:104], v[13:14], off offset:-2048
	global_load_dwordx2 v[105:106], v[11:12], off offset:256
	global_load_dwordx2 v[107:108], v[11:12], off offset:512
	;; [unrolled: 1-line block ×7, first 2 shown]
	v_mov_b32_e32 v6, v2
	v_or_b32_e32 v5, 0x100, v1
	global_load_dwordx2 v[61:62], v[13:14], off
	v_lshlrev_b64 v[7:8], 3, v[1:2]
	v_or_b32_e32 v131, 0x200, v1
	v_or_b32_e32 v133, 0x300, v1
	v_lshlrev_b64 v[137:138], 3, v[5:6]
	v_add_co_u32 v5, vcc_lo, 0x2000, v3
	v_add_co_ci_u32_e64 v6, null, 0, v4, vcc_lo
	s_clause 0x3
	global_load_dwordx2 v[97:98], v[5:6], off offset:256
	global_load_dwordx2 v[99:100], v[5:6], off offset:512
	;; [unrolled: 1-line block ×4, first 2 shown]
	v_add_co_u32 v139, vcc_lo, s2, v7
	v_add_co_ci_u32_e64 v140, null, s3, v8, vcc_lo
	v_add_co_u32 v7, vcc_lo, 0x2800, v3
	v_add_co_ci_u32_e64 v8, null, 0, v4, vcc_lo
	;; [unrolled: 2-line block ×5, first 2 shown]
	s_clause 0x1a
	global_load_dwordx2 v[63:64], v[5:6], off offset:1280
	global_load_dwordx2 v[51:52], v[5:6], off offset:1536
	;; [unrolled: 1-line block ×3, first 2 shown]
	global_load_dwordx2 v[49:50], v[9:10], off offset:-2048
	global_load_dwordx2 v[31:32], v[9:10], off
	global_load_dwordx2 v[45:46], v[7:8], off offset:256
	global_load_dwordx2 v[47:48], v[7:8], off offset:512
	;; [unrolled: 1-line block ×14, first 2 shown]
	global_load_dwordx2 v[15:16], v[3:4], off
	global_load_dwordx2 v[17:18], v[3:4], off offset:256
	global_load_dwordx2 v[13:14], v[3:4], off offset:512
	;; [unrolled: 1-line block ×7, first 2 shown]
	v_lshlrev_b64 v[131:132], 3, v[131:132]
	v_add_co_u32 v137, vcc_lo, s2, v137
	v_add_co_ci_u32_e64 v138, null, s3, v138, vcc_lo
	v_or_b32_e32 v135, 0x400, v1
	v_add_co_u32 v131, vcc_lo, s2, v131
	v_add_co_ci_u32_e64 v132, null, s3, v132, vcc_lo
	v_lshlrev_b64 v[133:134], 3, v[133:134]
	v_or_b32_e32 v141, 0x1d00, v1
	s_waitcnt vmcnt(62)
	global_store_dwordx2 v[139:140], v[113:114], off
	v_mov_b32_e32 v114, v2
	s_waitcnt vmcnt(61)
	global_store_dwordx2 v[131:132], v[117:118], off
	v_lshlrev_b64 v[117:118], 3, v[135:136]
	v_add_co_u32 v131, vcc_lo, s2, v133
	v_add_co_ci_u32_e64 v132, null, s3, v134, vcc_lo
	v_or_b32_e32 v113, 0x500, v1
	v_add_co_u32 v117, vcc_lo, s2, v117
	v_mov_b32_e32 v139, v2
	global_store_dwordx2 v[137:138], v[115:116], off
	v_add_co_ci_u32_e64 v118, null, s3, v118, vcc_lo
	v_or_b32_e32 v138, 0x600, v1
	v_mov_b32_e32 v115, v2
	v_lshlrev_b64 v[134:135], 3, v[113:114]
	v_or_b32_e32 v114, 0x700, v1
	s_waitcnt vmcnt(59)
	global_store_dwordx2 v[117:118], v[121:122], off
	v_lshlrev_b64 v[117:118], 3, v[138:139]
	global_store_dwordx2 v[131:132], v[119:120], off
	v_mov_b32_e32 v137, v2
	v_lshlrev_b64 v[114:115], 3, v[114:115]
	v_add_co_u32 v120, vcc_lo, s2, v134
	v_add_co_ci_u32_e64 v121, null, s3, v135, vcc_lo
	v_add_co_u32 v117, vcc_lo, s2, v117
	v_add_co_ci_u32_e64 v118, null, s3, v118, vcc_lo
	v_or_b32_e32 v136, 0x800, v1
	v_add_co_u32 v134, vcc_lo, s2, v114
	v_mov_b32_e32 v116, v2
	v_add_co_ci_u32_e64 v135, null, s3, v115, vcc_lo
	v_or_b32_e32 v115, 0x900, v1
	s_waitcnt vmcnt(57)
	global_store_dwordx2 v[117:118], v[125:126], off
	v_lshlrev_b64 v[125:126], 3, v[136:137]
	v_mov_b32_e32 v133, v2
	v_or_b32_e32 v132, 0xa00, v1
	v_lshlrev_b64 v[114:115], 3, v[115:116]
	v_mov_b32_e32 v119, v2
	v_or_b32_e32 v118, 0xb00, v1
	v_add_co_u32 v125, vcc_lo, s2, v125
	v_add_co_ci_u32_e64 v126, null, s3, v126, vcc_lo
	v_add_co_u32 v114, vcc_lo, s2, v114
	v_add_co_ci_u32_e64 v115, null, s3, v115, vcc_lo
	v_mov_b32_e32 v131, v2
	s_waitcnt vmcnt(55)
	global_store_dwordx2 v[125:126], v[129:130], off
	v_or_b32_e32 v130, 0xc00, v1
	v_lshlrev_b64 v[125:126], 3, v[132:133]
	s_waitcnt vmcnt(54)
	global_store_dwordx2 v[114:115], v[109:110], off
	v_lshlrev_b64 v[114:115], 3, v[118:119]
	v_mov_b32_e32 v113, v2
	v_lshlrev_b64 v[118:119], 3, v[130:131]
	v_mov_b32_e32 v122, v2
	v_add_co_u32 v125, vcc_lo, s2, v125
	v_add_co_ci_u32_e64 v126, null, s3, v126, vcc_lo
	v_add_co_u32 v114, vcc_lo, s2, v114
	v_add_co_ci_u32_e64 v115, null, s3, v115, vcc_lo
	;; [unrolled: 2-line block ×3, first 2 shown]
	global_store_dwordx2 v[120:121], v[123:124], off
	v_or_b32_e32 v121, 0xe00, v1
	v_mov_b32_e32 v120, v2
	s_waitcnt vmcnt(51)
	global_store_dwordx2 v[118:119], v[111:112], off
	v_or_b32_e32 v112, 0xd00, v1
	v_or_b32_e32 v119, 0xf00, v1
	v_mov_b32_e32 v124, v2
	v_or_b32_e32 v123, 0x1000, v1
	v_lshlrev_b64 v[121:122], 3, v[121:122]
	v_lshlrev_b64 v[111:112], 3, v[112:113]
	v_mov_b32_e32 v117, v2
	v_or_b32_e32 v116, 0x1100, v1
	v_lshlrev_b64 v[118:119], 3, v[119:120]
	v_mov_b32_e32 v136, v2
	global_store_dwordx2 v[134:135], v[127:128], off
	v_or_b32_e32 v135, 0x1200, v1
	v_lshlrev_b64 v[123:124], 3, v[123:124]
	v_add_co_u32 v111, vcc_lo, s2, v111
	v_mov_b32_e32 v127, v2
	global_store_dwordx2 v[125:126], v[89:90], off
	v_or_b32_e32 v126, 0x1300, v1
	v_lshlrev_b64 v[116:117], 3, v[116:117]
	v_add_co_ci_u32_e64 v112, null, s3, v112, vcc_lo
	v_add_co_u32 v120, vcc_lo, s2, v121
	v_mov_b32_e32 v134, v2
	global_store_dwordx2 v[114:115], v[55:56], off
	v_mov_b32_e32 v115, v2
	v_or_b32_e32 v133, 0x1400, v1
	v_or_b32_e32 v114, 0x1c00, v1
	v_lshlrev_b64 v[135:136], 3, v[135:136]
	v_add_co_ci_u32_e64 v121, null, s3, v122, vcc_lo
	v_add_co_u32 v118, vcc_lo, s2, v118
	v_mov_b32_e32 v129, v2
	v_or_b32_e32 v128, 0x1500, v1
	v_lshlrev_b64 v[125:126], 3, v[126:127]
	v_add_co_ci_u32_e64 v119, null, s3, v119, vcc_lo
	v_add_co_u32 v122, vcc_lo, s2, v123
	v_mov_b32_e32 v132, v2
	v_or_b32_e32 v131, 0x1600, v1
	v_lshlrev_b64 v[133:134], 3, v[133:134]
	v_lshlrev_b64 v[113:114], 3, v[114:115]
	v_add_co_ci_u32_e64 v123, null, s3, v124, vcc_lo
	v_add_co_u32 v115, vcc_lo, s2, v116
	v_mov_b32_e32 v110, v2
	v_or_b32_e32 v109, 0x1700, v1
	v_lshlrev_b64 v[127:128], 3, v[128:129]
	v_add_co_ci_u32_e64 v116, null, s3, v117, vcc_lo
	v_add_co_u32 v135, vcc_lo, s2, v135
	v_mov_b32_e32 v138, v2
	v_or_b32_e32 v137, 0x1800, v1
	;; [unrolled: 5-line block ×5, first 2 shown]
	v_lshlrev_b64 v[89:90], 3, v[89:90]
	v_add_co_ci_u32_e64 v127, null, s3, v128, vcc_lo
	v_add_co_u32 v128, vcc_lo, s2, v129
	v_lshlrev_b64 v[137:138], 3, v[139:140]
	v_add_co_ci_u32_e64 v129, null, s3, v130, vcc_lo
	v_add_co_u32 v109, vcc_lo, s2, v109
	;; [unrolled: 3-line block ×3, first 2 shown]
	v_add_co_ci_u32_e64 v131, null, s3, v132, vcc_lo
	v_add_co_u32 v89, vcc_lo, s2, v89
	v_add_co_ci_u32_e64 v90, null, s3, v90, vcc_lo
	v_add_co_u32 v137, vcc_lo, s2, v137
	v_add_co_ci_u32_e64 v138, null, s3, v138, vcc_lo
	v_add_co_u32 v55, vcc_lo, s2, v55
	v_add_co_ci_u32_e64 v56, null, s3, v56, vcc_lo
	v_add_co_u32 v113, vcc_lo, s2, v113
	v_or_b32_e32 v117, 0x1e00, v1
	s_waitcnt vmcnt(50)
	global_store_dwordx2 v[111:112], v[65:66], off
	s_waitcnt vmcnt(49)
	global_store_dwordx2 v[120:121], v[67:68], off
	;; [unrolled: 2-line block ×14, first 2 shown]
	v_mov_b32_e32 v118, v2
	v_add_co_ci_u32_e64 v114, null, s3, v114, vcc_lo
	v_or_b32_e32 v65, 0x1f00, v1
	v_mov_b32_e32 v66, v2
	v_lshlrev_b64 v[139:140], 3, v[141:142]
	s_waitcnt vmcnt(36)
	global_store_dwordx2 v[55:56], v[93:94], off
	s_waitcnt vmcnt(35)
	global_store_dwordx2 v[113:114], v[95:96], off
	v_lshlrev_b64 v[55:56], 3, v[117:118]
	v_or_b32_e32 v67, 0x2000, v1
	v_lshlrev_b64 v[65:66], 3, v[65:66]
	v_mov_b32_e32 v68, v2
	v_add_co_u32 v139, vcc_lo, s2, v139
	v_add_co_ci_u32_e64 v140, null, s3, v140, vcc_lo
	v_add_co_u32 v55, vcc_lo, s2, v55
	v_add_co_ci_u32_e64 v56, null, s3, v56, vcc_lo
	v_add_co_u32 v65, vcc_lo, s2, v65
	v_lshlrev_b64 v[67:68], 3, v[67:68]
	v_add_co_ci_u32_e64 v66, null, s3, v66, vcc_lo
	v_or_b32_e32 v69, 0x2100, v1
	v_mov_b32_e32 v70, v2
	v_or_b32_e32 v71, 0x2200, v1
	v_mov_b32_e32 v72, v2
	s_waitcnt vmcnt(34)
	global_store_dwordx2 v[139:140], v[91:92], off
	s_waitcnt vmcnt(33)
	global_store_dwordx2 v[55:56], v[57:58], off
	;; [unrolled: 2-line block ×3, first 2 shown]
	v_or_b32_e32 v59, 0x2300, v1
	v_mov_b32_e32 v60, v2
	v_lshlrev_b64 v[55:56], 3, v[69:70]
	v_add_co_u32 v67, vcc_lo, s2, v67
	v_lshlrev_b64 v[57:58], 3, v[71:72]
	v_add_co_ci_u32_e64 v68, null, s3, v68, vcc_lo
	v_lshlrev_b64 v[59:60], 3, v[59:60]
	v_add_co_u32 v55, vcc_lo, s2, v55
	s_waitcnt vmcnt(31)
	global_store_dwordx2 v[67:68], v[61:62], off
	v_add_co_ci_u32_e64 v56, null, s3, v56, vcc_lo
	v_add_co_u32 v57, vcc_lo, s2, v57
	v_or_b32_e32 v61, 0x2400, v1
	v_mov_b32_e32 v62, v2
	v_add_co_ci_u32_e64 v58, null, s3, v58, vcc_lo
	v_add_co_u32 v59, vcc_lo, s2, v59
	v_or_b32_e32 v65, 0x2500, v1
	v_mov_b32_e32 v66, v2
	v_add_co_ci_u32_e64 v60, null, s3, v60, vcc_lo
	v_lshlrev_b64 v[61:62], 3, v[61:62]
	s_waitcnt vmcnt(30)
	global_store_dwordx2 v[55:56], v[97:98], off
	s_waitcnt vmcnt(29)
	global_store_dwordx2 v[57:58], v[99:100], off
	;; [unrolled: 2-line block ×3, first 2 shown]
	v_lshlrev_b64 v[55:56], 3, v[65:66]
	v_or_b32_e32 v59, 0x2600, v1
	v_mov_b32_e32 v60, v2
	v_add_co_u32 v57, vcc_lo, s2, v61
	v_add_co_ci_u32_e64 v58, null, s3, v62, vcc_lo
	v_add_co_u32 v55, vcc_lo, s2, v55
	v_add_co_ci_u32_e64 v56, null, s3, v56, vcc_lo
	s_waitcnt vmcnt(27)
	global_store_dwordx2 v[57:58], v[77:78], off
	v_or_b32_e32 v57, 0x2700, v1
	v_mov_b32_e32 v58, v2
	s_waitcnt vmcnt(26)
	global_store_dwordx2 v[55:56], v[63:64], off
	v_or_b32_e32 v55, 0x2800, v1
	v_mov_b32_e32 v56, v2
	v_lshlrev_b64 v[59:60], 3, v[59:60]
	v_lshlrev_b64 v[57:58], 3, v[57:58]
	v_or_b32_e32 v61, 0x2900, v1
	v_mov_b32_e32 v62, v2
	v_lshlrev_b64 v[55:56], 3, v[55:56]
	v_or_b32_e32 v63, 0x2a00, v1
	v_add_co_u32 v59, vcc_lo, s2, v59
	v_add_co_ci_u32_e64 v60, null, s3, v60, vcc_lo
	v_add_co_u32 v57, vcc_lo, s2, v57
	v_add_co_ci_u32_e64 v58, null, s3, v58, vcc_lo
	;; [unrolled: 2-line block ×3, first 2 shown]
	v_mov_b32_e32 v64, v2
	s_waitcnt vmcnt(25)
	global_store_dwordx2 v[59:60], v[51:52], off
	s_waitcnt vmcnt(24)
	global_store_dwordx2 v[57:58], v[53:54], off
	v_or_b32_e32 v53, 0x2b00, v1
	v_mov_b32_e32 v54, v2
	v_lshlrev_b64 v[51:52], 3, v[61:62]
	s_waitcnt vmcnt(23)
	global_store_dwordx2 v[55:56], v[49:50], off
	v_lshlrev_b64 v[49:50], 3, v[63:64]
	v_or_b32_e32 v55, 0x2c00, v1
	v_lshlrev_b64 v[53:54], 3, v[53:54]
	v_mov_b32_e32 v56, v2
	v_add_co_u32 v51, vcc_lo, s2, v51
	v_add_co_ci_u32_e64 v52, null, s3, v52, vcc_lo
	v_add_co_u32 v49, vcc_lo, s2, v49
	v_add_co_ci_u32_e64 v50, null, s3, v50, vcc_lo
	v_add_co_u32 v53, vcc_lo, s2, v53
	v_add_co_ci_u32_e64 v54, null, s3, v54, vcc_lo
	v_or_b32_e32 v57, 0x2d00, v1
	v_mov_b32_e32 v58, v2
	s_waitcnt vmcnt(21)
	global_store_dwordx2 v[51:52], v[45:46], off
	s_waitcnt vmcnt(20)
	global_store_dwordx2 v[49:50], v[47:48], off
	v_or_b32_e32 v47, 0x2e00, v1
	v_mov_b32_e32 v48, v2
	v_lshlrev_b64 v[45:46], 3, v[55:56]
	s_waitcnt vmcnt(19)
	global_store_dwordx2 v[53:54], v[43:44], off
	v_lshlrev_b64 v[43:44], 3, v[57:58]
	v_or_b32_e32 v49, 0x2f00, v1
	v_lshlrev_b64 v[47:48], 3, v[47:48]
	v_mov_b32_e32 v50, v2
	v_add_co_u32 v45, vcc_lo, s2, v45
	v_add_co_ci_u32_e64 v46, null, s3, v46, vcc_lo
	v_add_co_u32 v43, vcc_lo, s2, v43
	v_add_co_ci_u32_e64 v44, null, s3, v44, vcc_lo
	v_add_co_u32 v47, vcc_lo, s2, v47
	v_add_co_ci_u32_e64 v48, null, s3, v48, vcc_lo
	v_or_b32_e32 v51, 0x3000, v1
	v_mov_b32_e32 v52, v2
	s_waitcnt vmcnt(18)
	global_store_dwordx2 v[45:46], v[39:40], off
	s_waitcnt vmcnt(17)
	global_store_dwordx2 v[43:44], v[41:42], off
	v_or_b32_e32 v41, 0x3100, v1
	v_mov_b32_e32 v42, v2
	v_lshlrev_b64 v[39:40], 3, v[49:50]
	s_waitcnt vmcnt(16)
	global_store_dwordx2 v[47:48], v[37:38], off
	v_lshlrev_b64 v[37:38], 3, v[51:52]
	v_or_b32_e32 v43, 0x3200, v1
	v_lshlrev_b64 v[41:42], 3, v[41:42]
	v_mov_b32_e32 v44, v2
	v_add_co_u32 v39, vcc_lo, s2, v39
	v_add_co_ci_u32_e64 v40, null, s3, v40, vcc_lo
	v_add_co_u32 v37, vcc_lo, s2, v37
	v_add_co_ci_u32_e64 v38, null, s3, v38, vcc_lo
	v_add_co_u32 v41, vcc_lo, s2, v41
	v_add_co_ci_u32_e64 v42, null, s3, v42, vcc_lo
	v_or_b32_e32 v45, 0x3300, v1
	v_mov_b32_e32 v46, v2
	s_waitcnt vmcnt(15)
	global_store_dwordx2 v[39:40], v[35:36], off
	global_store_dwordx2 v[37:38], v[31:32], off
	v_or_b32_e32 v35, 0x3400, v1
	v_mov_b32_e32 v36, v2
	v_lshlrev_b64 v[31:32], 3, v[43:44]
	s_waitcnt vmcnt(14)
	global_store_dwordx2 v[41:42], v[33:34], off
	v_lshlrev_b64 v[33:34], 3, v[45:46]
	v_or_b32_e32 v37, 0x3500, v1
	v_lshlrev_b64 v[35:36], 3, v[35:36]
	v_mov_b32_e32 v38, v2
	v_add_co_u32 v31, vcc_lo, s2, v31
	v_add_co_ci_u32_e64 v32, null, s3, v32, vcc_lo
	v_add_co_u32 v33, vcc_lo, s2, v33
	v_add_co_ci_u32_e64 v34, null, s3, v34, vcc_lo
	v_add_co_u32 v35, vcc_lo, s2, v35
	v_add_co_ci_u32_e64 v36, null, s3, v36, vcc_lo
	v_or_b32_e32 v39, 0x3600, v1
	v_mov_b32_e32 v40, v2
	s_waitcnt vmcnt(13)
	global_store_dwordx2 v[31:32], v[27:28], off
	s_waitcnt vmcnt(12)
	global_store_dwordx2 v[33:34], v[29:30], off
	v_or_b32_e32 v29, 0x3700, v1
	v_mov_b32_e32 v30, v2
	v_lshlrev_b64 v[27:28], 3, v[37:38]
	s_waitcnt vmcnt(11)
	global_store_dwordx2 v[35:36], v[25:26], off
	v_lshlrev_b64 v[25:26], 3, v[39:40]
	v_or_b32_e32 v31, 0x3800, v1
	v_lshlrev_b64 v[29:30], 3, v[29:30]
	v_mov_b32_e32 v32, v2
	v_add_co_u32 v27, vcc_lo, s2, v27
	v_add_co_ci_u32_e64 v28, null, s3, v28, vcc_lo
	v_add_co_u32 v25, vcc_lo, s2, v25
	v_add_co_ci_u32_e64 v26, null, s3, v26, vcc_lo
	v_add_co_u32 v29, vcc_lo, s2, v29
	v_add_co_ci_u32_e64 v30, null, s3, v30, vcc_lo
	v_or_b32_e32 v33, 0x3900, v1
	v_mov_b32_e32 v34, v2
	s_waitcnt vmcnt(10)
	global_store_dwordx2 v[27:28], v[21:22], off
	s_waitcnt vmcnt(9)
	;; [unrolled: 21-line block ×3, first 2 shown]
	global_store_dwordx2 v[19:20], v[17:18], off
	v_or_b32_e32 v17, 0x3d00, v1
	v_mov_b32_e32 v18, v2
	v_lshlrev_b64 v[15:16], 3, v[25:26]
	v_or_b32_e32 v19, 0x3e00, v1
	v_mov_b32_e32 v20, v2
	s_waitcnt vmcnt(5)
	global_store_dwordx2 v[23:24], v[13:14], off
	v_lshlrev_b64 v[13:14], 3, v[27:28]
	v_or_b32_e32 v1, 0x3f00, v1
	v_lshlrev_b64 v[17:18], 3, v[17:18]
	v_add_co_u32 v15, vcc_lo, s2, v15
	v_lshlrev_b64 v[19:20], 3, v[19:20]
	v_add_co_ci_u32_e64 v16, null, s3, v16, vcc_lo
	v_add_co_u32 v13, vcc_lo, s2, v13
	v_lshlrev_b64 v[0:1], 3, v[1:2]
	v_add_co_ci_u32_e64 v14, null, s3, v14, vcc_lo
	v_add_co_u32 v17, vcc_lo, s2, v17
	v_add_co_ci_u32_e64 v18, null, s3, v18, vcc_lo
	v_add_co_u32 v19, vcc_lo, s2, v19
	;; [unrolled: 2-line block ×3, first 2 shown]
	v_add_co_ci_u32_e64 v1, null, s3, v1, vcc_lo
	s_waitcnt vmcnt(4)
	global_store_dwordx2 v[15:16], v[5:6], off
	s_waitcnt vmcnt(3)
	global_store_dwordx2 v[13:14], v[7:8], off
	;; [unrolled: 2-line block ×5, first 2 shown]
	s_endpgm
	.section	.rodata,"a",@progbits
	.p2align	6, 0x0
	.amdhsa_kernel _Z16warp_load_kernelILj256ELj64ELj32ELN6hipcub17WarpLoadAlgorithmE1EdEvPT3_S3_
		.amdhsa_group_segment_fixed_size 0
		.amdhsa_private_segment_fixed_size 0
		.amdhsa_kernarg_size 16
		.amdhsa_user_sgpr_count 6
		.amdhsa_user_sgpr_private_segment_buffer 1
		.amdhsa_user_sgpr_dispatch_ptr 0
		.amdhsa_user_sgpr_queue_ptr 0
		.amdhsa_user_sgpr_kernarg_segment_ptr 1
		.amdhsa_user_sgpr_dispatch_id 0
		.amdhsa_user_sgpr_flat_scratch_init 0
		.amdhsa_user_sgpr_private_segment_size 0
		.amdhsa_wavefront_size32 1
		.amdhsa_uses_dynamic_stack 0
		.amdhsa_system_sgpr_private_segment_wavefront_offset 0
		.amdhsa_system_sgpr_workgroup_id_x 1
		.amdhsa_system_sgpr_workgroup_id_y 0
		.amdhsa_system_sgpr_workgroup_id_z 0
		.amdhsa_system_sgpr_workgroup_info 0
		.amdhsa_system_vgpr_workitem_id 0
		.amdhsa_next_free_vgpr 143
		.amdhsa_next_free_sgpr 7
		.amdhsa_reserve_vcc 1
		.amdhsa_reserve_flat_scratch 0
		.amdhsa_float_round_mode_32 0
		.amdhsa_float_round_mode_16_64 0
		.amdhsa_float_denorm_mode_32 3
		.amdhsa_float_denorm_mode_16_64 3
		.amdhsa_dx10_clamp 1
		.amdhsa_ieee_mode 1
		.amdhsa_fp16_overflow 0
		.amdhsa_workgroup_processor_mode 1
		.amdhsa_memory_ordered 1
		.amdhsa_forward_progress 1
		.amdhsa_shared_vgpr_count 0
		.amdhsa_exception_fp_ieee_invalid_op 0
		.amdhsa_exception_fp_denorm_src 0
		.amdhsa_exception_fp_ieee_div_zero 0
		.amdhsa_exception_fp_ieee_overflow 0
		.amdhsa_exception_fp_ieee_underflow 0
		.amdhsa_exception_fp_ieee_inexact 0
		.amdhsa_exception_int_div_zero 0
	.end_amdhsa_kernel
	.section	.text._Z16warp_load_kernelILj256ELj64ELj32ELN6hipcub17WarpLoadAlgorithmE1EdEvPT3_S3_,"axG",@progbits,_Z16warp_load_kernelILj256ELj64ELj32ELN6hipcub17WarpLoadAlgorithmE1EdEvPT3_S3_,comdat
.Lfunc_end35:
	.size	_Z16warp_load_kernelILj256ELj64ELj32ELN6hipcub17WarpLoadAlgorithmE1EdEvPT3_S3_, .Lfunc_end35-_Z16warp_load_kernelILj256ELj64ELj32ELN6hipcub17WarpLoadAlgorithmE1EdEvPT3_S3_
                                        ; -- End function
	.set _Z16warp_load_kernelILj256ELj64ELj32ELN6hipcub17WarpLoadAlgorithmE1EdEvPT3_S3_.num_vgpr, 143
	.set _Z16warp_load_kernelILj256ELj64ELj32ELN6hipcub17WarpLoadAlgorithmE1EdEvPT3_S3_.num_agpr, 0
	.set _Z16warp_load_kernelILj256ELj64ELj32ELN6hipcub17WarpLoadAlgorithmE1EdEvPT3_S3_.numbered_sgpr, 7
	.set _Z16warp_load_kernelILj256ELj64ELj32ELN6hipcub17WarpLoadAlgorithmE1EdEvPT3_S3_.num_named_barrier, 0
	.set _Z16warp_load_kernelILj256ELj64ELj32ELN6hipcub17WarpLoadAlgorithmE1EdEvPT3_S3_.private_seg_size, 0
	.set _Z16warp_load_kernelILj256ELj64ELj32ELN6hipcub17WarpLoadAlgorithmE1EdEvPT3_S3_.uses_vcc, 1
	.set _Z16warp_load_kernelILj256ELj64ELj32ELN6hipcub17WarpLoadAlgorithmE1EdEvPT3_S3_.uses_flat_scratch, 0
	.set _Z16warp_load_kernelILj256ELj64ELj32ELN6hipcub17WarpLoadAlgorithmE1EdEvPT3_S3_.has_dyn_sized_stack, 0
	.set _Z16warp_load_kernelILj256ELj64ELj32ELN6hipcub17WarpLoadAlgorithmE1EdEvPT3_S3_.has_recursion, 0
	.set _Z16warp_load_kernelILj256ELj64ELj32ELN6hipcub17WarpLoadAlgorithmE1EdEvPT3_S3_.has_indirect_call, 0
	.section	.AMDGPU.csdata,"",@progbits
; Kernel info:
; codeLenInByte = 3856
; TotalNumSgprs: 9
; NumVgprs: 143
; ScratchSize: 0
; MemoryBound: 1
; FloatMode: 240
; IeeeMode: 1
; LDSByteSize: 0 bytes/workgroup (compile time only)
; SGPRBlocks: 0
; VGPRBlocks: 17
; NumSGPRsForWavesPerEU: 9
; NumVGPRsForWavesPerEU: 143
; Occupancy: 7
; WaveLimiterHint : 1
; COMPUTE_PGM_RSRC2:SCRATCH_EN: 0
; COMPUTE_PGM_RSRC2:USER_SGPR: 6
; COMPUTE_PGM_RSRC2:TRAP_HANDLER: 0
; COMPUTE_PGM_RSRC2:TGID_X_EN: 1
; COMPUTE_PGM_RSRC2:TGID_Y_EN: 0
; COMPUTE_PGM_RSRC2:TGID_Z_EN: 0
; COMPUTE_PGM_RSRC2:TIDIG_COMP_CNT: 0
	.section	.text._Z16warp_load_kernelILj256ELj64ELj32ELN6hipcub17WarpLoadAlgorithmE2EdEvPT3_S3_,"axG",@progbits,_Z16warp_load_kernelILj256ELj64ELj32ELN6hipcub17WarpLoadAlgorithmE2EdEvPT3_S3_,comdat
	.protected	_Z16warp_load_kernelILj256ELj64ELj32ELN6hipcub17WarpLoadAlgorithmE2EdEvPT3_S3_ ; -- Begin function _Z16warp_load_kernelILj256ELj64ELj32ELN6hipcub17WarpLoadAlgorithmE2EdEvPT3_S3_
	.globl	_Z16warp_load_kernelILj256ELj64ELj32ELN6hipcub17WarpLoadAlgorithmE2EdEvPT3_S3_
	.p2align	8
	.type	_Z16warp_load_kernelILj256ELj64ELj32ELN6hipcub17WarpLoadAlgorithmE2EdEvPT3_S3_,@function
_Z16warp_load_kernelILj256ELj64ELj32ELN6hipcub17WarpLoadAlgorithmE2EdEvPT3_S3_: ; @_Z16warp_load_kernelILj256ELj64ELj32ELN6hipcub17WarpLoadAlgorithmE2EdEvPT3_S3_
; %bb.0:
	s_load_dwordx4 s[0:3], s[4:5], 0x0
	v_lshlrev_b32_e32 v1, 6, v0
	s_lshl_b32 s4, s6, 14
	v_mov_b32_e32 v109, 0
	v_mbcnt_lo_u32_b32 v3, -1, 0
	v_and_or_b32 v108, 0x3800, v1, s4
	v_mov_b32_e32 v131, v109
	v_lshlrev_b32_e32 v3, 9, v3
	v_mov_b32_e32 v133, v109
	v_lshlrev_b64 v[1:2], 3, v[108:109]
	v_or_b32_e32 v108, s4, v0
	v_mov_b32_e32 v135, v109
	v_mov_b32_e32 v140, v109
	;; [unrolled: 1-line block ×3, first 2 shown]
	v_or_b32_e32 v0, 0x100, v108
	v_or_b32_e32 v130, 0x200, v108
	;; [unrolled: 1-line block ×3, first 2 shown]
	s_waitcnt lgkmcnt(0)
	v_add_co_u32 v1, vcc_lo, s0, v1
	v_add_co_ci_u32_e64 v2, null, s1, v2, vcc_lo
	v_lshlrev_b64 v[130:131], 3, v[130:131]
	v_add_co_u32 v12, vcc_lo, v1, v3
	v_add_co_ci_u32_e64 v13, null, 0, v2, vcc_lo
	v_mov_b32_e32 v1, v109
	v_lshlrev_b64 v[2:3], 3, v[108:109]
	v_or_b32_e32 v134, 0x400, v108
	s_clause 0x13
	global_load_dwordx4 v[110:113], v[12:13], off
	global_load_dwordx4 v[114:117], v[12:13], off offset:16
	global_load_dwordx4 v[118:121], v[12:13], off offset:32
	;; [unrolled: 1-line block ×19, first 2 shown]
	v_lshlrev_b64 v[0:1], 3, v[0:1]
	v_lshlrev_b64 v[132:133], 3, v[132:133]
	v_add_co_u32 v136, vcc_lo, s2, v2
	v_add_co_ci_u32_e64 v137, null, s3, v3, vcc_lo
	v_add_co_u32 v138, vcc_lo, s2, v0
	v_add_co_ci_u32_e64 v139, null, s3, v1, vcc_lo
	s_clause 0xb
	global_load_dwordx4 v[28:31], v[12:13], off offset:368
	global_load_dwordx4 v[36:39], v[12:13], off offset:352
	;; [unrolled: 1-line block ×12, first 2 shown]
	v_add_co_u32 v130, vcc_lo, s2, v130
	v_add_co_ci_u32_e64 v131, null, s3, v131, vcc_lo
	v_add_co_u32 v132, vcc_lo, s2, v132
	v_add_co_ci_u32_e64 v133, null, s3, v133, vcc_lo
	v_or_b32_e32 v141, 0x2700, v108
	s_waitcnt vmcnt(31)
	global_store_dwordx2 v[136:137], v[110:111], off
	v_mov_b32_e32 v111, v109
	v_or_b32_e32 v110, 0x500, v108
	global_store_dwordx2 v[138:139], v[112:113], off
	v_mov_b32_e32 v113, v109
	v_or_b32_e32 v112, 0x600, v108
	s_waitcnt vmcnt(30)
	global_store_dwordx2 v[130:131], v[114:115], off
	v_lshlrev_b64 v[130:131], 3, v[134:135]
	v_lshlrev_b64 v[110:111], 3, v[110:111]
	v_mov_b32_e32 v136, v109
	v_lshlrev_b64 v[112:113], 3, v[112:113]
	v_or_b32_e32 v135, 0x700, v108
	v_mov_b32_e32 v138, v109
	v_add_co_u32 v130, vcc_lo, s2, v130
	v_add_co_ci_u32_e64 v131, null, s3, v131, vcc_lo
	v_add_co_u32 v110, vcc_lo, s2, v110
	v_add_co_ci_u32_e64 v111, null, s3, v111, vcc_lo
	v_add_co_u32 v112, vcc_lo, s2, v112
	v_add_co_ci_u32_e64 v113, null, s3, v113, vcc_lo
	v_or_b32_e32 v137, 0x800, v108
	v_mov_b32_e32 v114, v109
	s_waitcnt vmcnt(29)
	global_store_dwordx2 v[130:131], v[118:119], off
	v_lshlrev_b64 v[130:131], 3, v[135:136]
	s_waitcnt vmcnt(28)
	global_store_dwordx2 v[112:113], v[122:123], off
	v_or_b32_e32 v113, 0x900, v108
	global_store_dwordx2 v[110:111], v[120:121], off
	v_lshlrev_b64 v[121:122], 3, v[137:138]
	global_store_dwordx2 v[132:133], v[116:117], off
	v_add_co_u32 v130, vcc_lo, s2, v130
	v_lshlrev_b64 v[113:114], 3, v[113:114]
	v_add_co_ci_u32_e64 v131, null, s3, v131, vcc_lo
	v_add_co_u32 v121, vcc_lo, s2, v121
	v_mov_b32_e32 v116, v109
	v_or_b32_e32 v115, 0xa00, v108
	v_add_co_ci_u32_e64 v122, null, s3, v122, vcc_lo
	v_add_co_u32 v113, vcc_lo, s2, v113
	v_mov_b32_e32 v132, v109
	global_store_dwordx2 v[130:131], v[124:125], off
	v_add_co_ci_u32_e64 v114, null, s3, v114, vcc_lo
	v_or_b32_e32 v131, 0xb00, v108
	s_waitcnt vmcnt(27)
	global_store_dwordx2 v[121:122], v[126:127], off
	v_lshlrev_b64 v[126:127], 3, v[115:116]
	v_mov_b32_e32 v117, v109
	global_store_dwordx2 v[113:114], v[128:129], off
	v_or_b32_e32 v116, 0xc00, v108
	v_lshlrev_b64 v[128:129], 3, v[131:132]
	v_mov_b32_e32 v119, v109
	v_or_b32_e32 v118, 0xd00, v108
	v_add_co_u32 v126, vcc_lo, s2, v126
	v_lshlrev_b64 v[116:117], 3, v[116:117]
	v_add_co_ci_u32_e64 v127, null, s3, v127, vcc_lo
	v_add_co_u32 v128, vcc_lo, s2, v128
	v_lshlrev_b64 v[118:119], 3, v[118:119]
	v_add_co_ci_u32_e64 v129, null, s3, v129, vcc_lo
	v_add_co_u32 v116, vcc_lo, s2, v116
	v_mov_b32_e32 v111, v109
	s_waitcnt vmcnt(26)
	global_store_dwordx2 v[128:129], v[106:107], off
	v_or_b32_e32 v110, 0xe00, v108
	v_add_co_ci_u32_e64 v117, null, s3, v117, vcc_lo
	v_add_co_u32 v128, vcc_lo, s2, v118
	v_mov_b32_e32 v120, v109
	v_add_co_ci_u32_e64 v129, null, s3, v119, vcc_lo
	v_or_b32_e32 v119, 0xf00, v108
	v_lshlrev_b64 v[110:111], 3, v[110:111]
	s_waitcnt vmcnt(25)
	global_store_dwordx2 v[116:117], v[96:97], off
	v_mov_b32_e32 v133, v109
	v_or_b32_e32 v132, 0x1000, v108
	v_lshlrev_b64 v[116:117], 3, v[119:120]
	v_mov_b32_e32 v112, v109
	v_add_co_u32 v119, vcc_lo, s2, v110
	v_add_co_ci_u32_e64 v120, null, s3, v111, vcc_lo
	v_add_co_u32 v116, vcc_lo, s2, v116
	global_store_dwordx2 v[128:129], v[98:99], off
	v_or_b32_e32 v111, 0x1100, v108
	v_lshlrev_b64 v[128:129], 3, v[132:133]
	v_add_co_ci_u32_e64 v117, null, s3, v117, vcc_lo
	v_mov_b32_e32 v123, v109
	v_or_b32_e32 v122, 0x1200, v108
	v_lshlrev_b64 v[110:111], 3, v[111:112]
	v_mov_b32_e32 v125, v109
	s_waitcnt vmcnt(24)
	global_store_dwordx2 v[116:117], v[66:67], off
	v_add_co_u32 v116, vcc_lo, s2, v128
	v_or_b32_e32 v124, 0x1300, v108
	v_mov_b32_e32 v130, v109
	v_add_co_ci_u32_e64 v117, null, s3, v129, vcc_lo
	v_or_b32_e32 v129, 0x1400, v108
	v_lshlrev_b64 v[122:123], 3, v[122:123]
	v_mov_b32_e32 v121, v109
	global_store_dwordx2 v[119:120], v[64:65], off
	v_or_b32_e32 v120, 0x1500, v108
	v_add_co_u32 v110, vcc_lo, s2, v110
	v_lshlrev_b64 v[124:125], 3, v[124:125]
	v_mov_b32_e32 v113, v109
	v_or_b32_e32 v112, 0x1600, v108
	v_add_co_ci_u32_e64 v111, null, s3, v111, vcc_lo
	v_lshlrev_b64 v[128:129], 3, v[129:130]
	v_mov_b32_e32 v115, v109
	v_or_b32_e32 v114, 0x1700, v108
	v_lshlrev_b64 v[119:120], 3, v[120:121]
	v_add_co_u32 v121, vcc_lo, s2, v122
	v_mov_b32_e32 v134, v109
	v_mov_b32_e32 v118, v109
	s_waitcnt vmcnt(23)
	global_store_dwordx2 v[116:117], v[100:101], off
	v_or_b32_e32 v133, 0x1800, v108
	v_or_b32_e32 v117, 0x1c00, v108
	v_lshlrev_b64 v[112:113], 3, v[112:113]
	v_add_co_ci_u32_e64 v122, null, s3, v123, vcc_lo
	v_add_co_u32 v123, vcc_lo, s2, v124
	global_store_dwordx2 v[126:127], v[104:105], off
	v_mov_b32_e32 v104, v109
	global_store_dwordx2 v[110:111], v[102:103], off
	v_or_b32_e32 v103, 0x1900, v108
	v_lshlrev_b64 v[114:115], 3, v[114:115]
	v_add_co_ci_u32_e64 v124, null, s3, v125, vcc_lo
	v_add_co_u32 v128, vcc_lo, s2, v128
	v_mov_b32_e32 v106, v109
	v_or_b32_e32 v105, 0x1a00, v108
	v_lshlrev_b64 v[133:134], 3, v[133:134]
	v_lshlrev_b64 v[116:117], 3, v[117:118]
	v_add_co_ci_u32_e64 v129, null, s3, v129, vcc_lo
	v_add_co_u32 v118, vcc_lo, s2, v119
	v_mov_b32_e32 v127, v109
	v_mov_b32_e32 v132, v109
	v_or_b32_e32 v126, 0x1b00, v108
	v_or_b32_e32 v131, 0x2300, v108
	v_lshlrev_b64 v[102:103], 3, v[103:104]
	v_add_co_ci_u32_e64 v119, null, s3, v120, vcc_lo
	v_add_co_u32 v112, vcc_lo, s2, v112
	v_lshlrev_b64 v[104:105], 3, v[105:106]
	v_add_co_ci_u32_e64 v113, null, s3, v113, vcc_lo
	v_add_co_u32 v114, vcc_lo, s2, v114
	v_mov_b32_e32 v97, v109
	v_or_b32_e32 v96, 0x1d00, v108
	v_lshlrev_b64 v[106:107], 3, v[126:127]
	v_lshlrev_b64 v[130:131], 3, v[131:132]
	v_add_co_ci_u32_e64 v115, null, s3, v115, vcc_lo
	v_add_co_u32 v132, vcc_lo, s2, v133
	v_mov_b32_e32 v99, v109
	v_or_b32_e32 v98, 0x1e00, v108
	v_add_co_ci_u32_e64 v133, null, s3, v134, vcc_lo
	v_add_co_u32 v102, vcc_lo, s2, v102
	v_or_b32_e32 v135, 0x1f00, v108
	v_lshlrev_b64 v[96:97], 3, v[96:97]
	v_add_co_ci_u32_e64 v103, null, s3, v103, vcc_lo
	v_add_co_u32 v104, vcc_lo, s2, v104
	v_or_b32_e32 v137, 0x2000, v108
	v_lshlrev_b64 v[98:99], 3, v[98:99]
	v_add_co_ci_u32_e64 v105, null, s3, v105, vcc_lo
	v_add_co_u32 v106, vcc_lo, s2, v106
	v_mov_b32_e32 v65, v109
	v_or_b32_e32 v64, 0x2100, v108
	v_lshlrev_b64 v[126:127], 3, v[135:136]
	v_add_co_ci_u32_e64 v107, null, s3, v107, vcc_lo
	v_add_co_u32 v116, vcc_lo, s2, v116
	v_mov_b32_e32 v67, v109
	v_or_b32_e32 v66, 0x2200, v108
	v_lshlrev_b64 v[135:136], 3, v[137:138]
	v_add_co_ci_u32_e64 v117, null, s3, v117, vcc_lo
	v_add_co_u32 v96, vcc_lo, s2, v96
	v_lshlrev_b64 v[64:65], 3, v[64:65]
	v_add_co_ci_u32_e64 v97, null, s3, v97, vcc_lo
	v_add_co_u32 v98, vcc_lo, s2, v98
	v_or_b32_e32 v139, 0x2400, v108
	v_lshlrev_b64 v[66:67], 3, v[66:67]
	v_add_co_ci_u32_e64 v99, null, s3, v99, vcc_lo
	v_add_co_u32 v125, vcc_lo, s2, v126
	v_add_co_ci_u32_e64 v126, null, s3, v127, vcc_lo
	v_add_co_u32 v134, vcc_lo, s2, v135
	v_lshlrev_b64 v[137:138], 3, v[139:140]
	v_add_co_ci_u32_e64 v135, null, s3, v136, vcc_lo
	v_add_co_u32 v64, vcc_lo, s2, v64
	v_mov_b32_e32 v101, v109
	v_or_b32_e32 v100, 0x2500, v108
	v_add_co_ci_u32_e64 v65, null, s3, v65, vcc_lo
	v_add_co_u32 v66, vcc_lo, s2, v66
	v_mov_b32_e32 v111, v109
	v_or_b32_e32 v110, 0x2600, v108
	v_add_co_ci_u32_e64 v67, null, s3, v67, vcc_lo
	v_add_co_u32 v130, vcc_lo, s2, v130
	v_lshlrev_b64 v[100:101], 3, v[100:101]
	v_add_co_ci_u32_e64 v131, null, s3, v131, vcc_lo
	v_add_co_u32 v136, vcc_lo, s2, v137
	v_add_co_ci_u32_e64 v137, null, s3, v138, vcc_lo
	s_waitcnt vmcnt(22)
	global_store_dwordx2 v[121:122], v[52:53], off
	global_store_dwordx2 v[123:124], v[54:55], off
	s_waitcnt vmcnt(21)
	global_store_dwordx2 v[128:129], v[60:61], off
	global_store_dwordx2 v[118:119], v[62:63], off
	s_waitcnt vmcnt(20)
	global_store_dwordx2 v[112:113], v[56:57], off
	global_store_dwordx2 v[114:115], v[58:59], off
	s_waitcnt vmcnt(19)
	global_store_dwordx2 v[132:133], v[92:93], off
	global_store_dwordx2 v[102:103], v[94:95], off
	s_waitcnt vmcnt(18)
	global_store_dwordx2 v[104:105], v[84:85], off
	global_store_dwordx2 v[106:107], v[86:87], off
	s_waitcnt vmcnt(17)
	global_store_dwordx2 v[116:117], v[76:77], off
	global_store_dwordx2 v[96:97], v[78:79], off
	s_waitcnt vmcnt(16)
	global_store_dwordx2 v[98:99], v[72:73], off
	global_store_dwordx2 v[125:126], v[74:75], off
	s_waitcnt vmcnt(15)
	global_store_dwordx2 v[134:135], v[88:89], off
	global_store_dwordx2 v[64:65], v[90:91], off
	s_waitcnt vmcnt(14)
	global_store_dwordx2 v[66:67], v[80:81], off
	global_store_dwordx2 v[130:131], v[82:83], off
	s_waitcnt vmcnt(13)
	global_store_dwordx2 v[136:137], v[68:69], off
	v_lshlrev_b64 v[52:53], 3, v[110:111]
	v_lshlrev_b64 v[54:55], 3, v[141:142]
	v_or_b32_e32 v56, 0x2800, v108
	v_mov_b32_e32 v57, v109
	v_add_co_u32 v100, vcc_lo, s2, v100
	v_add_co_ci_u32_e64 v101, null, s3, v101, vcc_lo
	v_add_co_u32 v52, vcc_lo, s2, v52
	v_add_co_ci_u32_e64 v53, null, s3, v53, vcc_lo
	v_lshlrev_b64 v[56:57], 3, v[56:57]
	v_add_co_u32 v54, vcc_lo, s2, v54
	v_or_b32_e32 v58, 0x2900, v108
	v_mov_b32_e32 v59, v109
	v_add_co_ci_u32_e64 v55, null, s3, v55, vcc_lo
	v_or_b32_e32 v60, 0x2a00, v108
	v_mov_b32_e32 v61, v109
	global_store_dwordx2 v[100:101], v[70:71], off
	v_add_co_u32 v56, vcc_lo, s2, v56
	s_waitcnt vmcnt(12)
	global_store_dwordx2 v[52:53], v[40:41], off
	global_store_dwordx2 v[54:55], v[42:43], off
	v_lshlrev_b64 v[40:41], 3, v[58:59]
	v_add_co_ci_u32_e64 v57, null, s3, v57, vcc_lo
	v_lshlrev_b64 v[42:43], 3, v[60:61]
	v_or_b32_e32 v52, 0x2c00, v108
	v_mov_b32_e32 v53, v109
	v_add_co_u32 v40, vcc_lo, s2, v40
	s_waitcnt vmcnt(8)
	global_store_dwordx2 v[56:57], v[48:49], off
	v_or_b32_e32 v48, 0x2b00, v108
	v_mov_b32_e32 v49, v109
	v_add_co_ci_u32_e64 v41, null, s3, v41, vcc_lo
	v_add_co_u32 v42, vcc_lo, s2, v42
	v_add_co_ci_u32_e64 v43, null, s3, v43, vcc_lo
	v_lshlrev_b64 v[48:49], 3, v[48:49]
	v_or_b32_e32 v54, 0x2d00, v108
	v_mov_b32_e32 v55, v109
	global_store_dwordx2 v[40:41], v[50:51], off
	global_store_dwordx2 v[42:43], v[44:45], off
	v_or_b32_e32 v44, 0x2e00, v108
	v_mov_b32_e32 v45, v109
	v_lshlrev_b64 v[40:41], 3, v[52:53]
	v_lshlrev_b64 v[42:43], 3, v[54:55]
	v_add_co_u32 v48, vcc_lo, s2, v48
	v_lshlrev_b64 v[44:45], 3, v[44:45]
	v_add_co_ci_u32_e64 v49, null, s3, v49, vcc_lo
	v_add_co_u32 v40, vcc_lo, s2, v40
	v_add_co_ci_u32_e64 v41, null, s3, v41, vcc_lo
	v_add_co_u32 v42, vcc_lo, s2, v42
	global_store_dwordx2 v[48:49], v[46:47], off
	v_add_co_ci_u32_e64 v43, null, s3, v43, vcc_lo
	v_add_co_u32 v44, vcc_lo, s2, v44
	v_or_b32_e32 v46, 0x2f00, v108
	v_mov_b32_e32 v47, v109
	v_add_co_ci_u32_e64 v45, null, s3, v45, vcc_lo
	v_or_b32_e32 v48, 0x3000, v108
	v_mov_b32_e32 v49, v109
	global_store_dwordx2 v[40:41], v[36:37], off
	global_store_dwordx2 v[42:43], v[38:39], off
	v_lshlrev_b64 v[36:37], 3, v[46:47]
	global_store_dwordx2 v[44:45], v[28:29], off
	v_or_b32_e32 v38, 0x3100, v108
	v_lshlrev_b64 v[28:29], 3, v[48:49]
	v_mov_b32_e32 v39, v109
	v_or_b32_e32 v40, 0x3200, v108
	v_add_co_u32 v36, vcc_lo, s2, v36
	v_add_co_ci_u32_e64 v37, null, s3, v37, vcc_lo
	v_add_co_u32 v28, vcc_lo, s2, v28
	v_add_co_ci_u32_e64 v29, null, s3, v29, vcc_lo
	v_mov_b32_e32 v41, v109
	v_lshlrev_b64 v[38:39], 3, v[38:39]
	v_or_b32_e32 v42, 0x3300, v108
	v_mov_b32_e32 v43, v109
	global_store_dwordx2 v[36:37], v[30:31], off
	s_waitcnt vmcnt(4)
	global_store_dwordx2 v[28:29], v[32:33], off
	v_or_b32_e32 v32, 0x3400, v108
	v_mov_b32_e32 v33, v109
	v_lshlrev_b64 v[28:29], 3, v[40:41]
	v_lshlrev_b64 v[30:31], 3, v[42:43]
	v_add_co_u32 v38, vcc_lo, s2, v38
	v_lshlrev_b64 v[32:33], 3, v[32:33]
	v_add_co_ci_u32_e64 v39, null, s3, v39, vcc_lo
	v_add_co_u32 v28, vcc_lo, s2, v28
	v_add_co_ci_u32_e64 v29, null, s3, v29, vcc_lo
	v_add_co_u32 v30, vcc_lo, s2, v30
	global_store_dwordx2 v[38:39], v[34:35], off
	v_add_co_ci_u32_e64 v31, null, s3, v31, vcc_lo
	v_add_co_u32 v32, vcc_lo, s2, v32
	v_or_b32_e32 v34, 0x3500, v108
	v_mov_b32_e32 v35, v109
	v_add_co_ci_u32_e64 v33, null, s3, v33, vcc_lo
	v_or_b32_e32 v36, 0x3600, v108
	v_mov_b32_e32 v37, v109
	global_store_dwordx2 v[28:29], v[24:25], off
	global_store_dwordx2 v[30:31], v[26:27], off
	v_or_b32_e32 v26, 0x3700, v108
	v_mov_b32_e32 v27, v109
	v_lshlrev_b64 v[24:25], 3, v[34:35]
	global_store_dwordx2 v[32:33], v[20:21], off
	v_lshlrev_b64 v[20:21], 3, v[36:37]
	v_or_b32_e32 v28, 0x3800, v108
	v_lshlrev_b64 v[26:27], 3, v[26:27]
	v_mov_b32_e32 v29, v109
	v_add_co_u32 v24, vcc_lo, s2, v24
	v_add_co_ci_u32_e64 v25, null, s3, v25, vcc_lo
	v_add_co_u32 v20, vcc_lo, s2, v20
	v_add_co_ci_u32_e64 v21, null, s3, v21, vcc_lo
	;; [unrolled: 2-line block ×3, first 2 shown]
	v_or_b32_e32 v30, 0x3900, v108
	v_mov_b32_e32 v31, v109
	global_store_dwordx2 v[24:25], v[22:23], off
	global_store_dwordx2 v[20:21], v[16:17], off
	v_or_b32_e32 v20, 0x3a00, v108
	v_mov_b32_e32 v21, v109
	v_lshlrev_b64 v[16:17], 3, v[28:29]
	global_store_dwordx2 v[26:27], v[18:19], off
	v_lshlrev_b64 v[18:19], 3, v[30:31]
	v_or_b32_e32 v22, 0x3b00, v108
	v_lshlrev_b64 v[20:21], 3, v[20:21]
	v_mov_b32_e32 v23, v109
	v_add_co_u32 v16, vcc_lo, s2, v16
	v_add_co_ci_u32_e64 v17, null, s3, v17, vcc_lo
	v_add_co_u32 v18, vcc_lo, s2, v18
	v_add_co_ci_u32_e64 v19, null, s3, v19, vcc_lo
	;; [unrolled: 2-line block ×3, first 2 shown]
	v_or_b32_e32 v24, 0x3c00, v108
	v_mov_b32_e32 v25, v109
	s_waitcnt vmcnt(0)
	global_store_dwordx2 v[16:17], v[12:13], off
	global_store_dwordx2 v[18:19], v[14:15], off
	v_or_b32_e32 v14, 0x3d00, v108
	v_mov_b32_e32 v15, v109
	v_lshlrev_b64 v[12:13], 3, v[22:23]
	v_or_b32_e32 v16, 0x3e00, v108
	v_mov_b32_e32 v17, v109
	global_store_dwordx2 v[20:21], v[8:9], off
	v_lshlrev_b64 v[8:9], 3, v[24:25]
	v_or_b32_e32 v108, 0x3f00, v108
	v_lshlrev_b64 v[14:15], 3, v[14:15]
	v_add_co_u32 v12, vcc_lo, s2, v12
	v_lshlrev_b64 v[16:17], 3, v[16:17]
	v_add_co_ci_u32_e64 v13, null, s3, v13, vcc_lo
	v_add_co_u32 v8, vcc_lo, s2, v8
	v_lshlrev_b64 v[18:19], 3, v[108:109]
	v_add_co_ci_u32_e64 v9, null, s3, v9, vcc_lo
	v_add_co_u32 v14, vcc_lo, s2, v14
	v_add_co_ci_u32_e64 v15, null, s3, v15, vcc_lo
	v_add_co_u32 v16, vcc_lo, s2, v16
	;; [unrolled: 2-line block ×3, first 2 shown]
	v_add_co_ci_u32_e64 v19, null, s3, v19, vcc_lo
	global_store_dwordx2 v[12:13], v[10:11], off
	global_store_dwordx2 v[8:9], v[4:5], off
	;; [unrolled: 1-line block ×5, first 2 shown]
	s_endpgm
	.section	.rodata,"a",@progbits
	.p2align	6, 0x0
	.amdhsa_kernel _Z16warp_load_kernelILj256ELj64ELj32ELN6hipcub17WarpLoadAlgorithmE2EdEvPT3_S3_
		.amdhsa_group_segment_fixed_size 0
		.amdhsa_private_segment_fixed_size 0
		.amdhsa_kernarg_size 16
		.amdhsa_user_sgpr_count 6
		.amdhsa_user_sgpr_private_segment_buffer 1
		.amdhsa_user_sgpr_dispatch_ptr 0
		.amdhsa_user_sgpr_queue_ptr 0
		.amdhsa_user_sgpr_kernarg_segment_ptr 1
		.amdhsa_user_sgpr_dispatch_id 0
		.amdhsa_user_sgpr_flat_scratch_init 0
		.amdhsa_user_sgpr_private_segment_size 0
		.amdhsa_wavefront_size32 1
		.amdhsa_uses_dynamic_stack 0
		.amdhsa_system_sgpr_private_segment_wavefront_offset 0
		.amdhsa_system_sgpr_workgroup_id_x 1
		.amdhsa_system_sgpr_workgroup_id_y 0
		.amdhsa_system_sgpr_workgroup_id_z 0
		.amdhsa_system_sgpr_workgroup_info 0
		.amdhsa_system_vgpr_workitem_id 0
		.amdhsa_next_free_vgpr 143
		.amdhsa_next_free_sgpr 7
		.amdhsa_reserve_vcc 1
		.amdhsa_reserve_flat_scratch 0
		.amdhsa_float_round_mode_32 0
		.amdhsa_float_round_mode_16_64 0
		.amdhsa_float_denorm_mode_32 3
		.amdhsa_float_denorm_mode_16_64 3
		.amdhsa_dx10_clamp 1
		.amdhsa_ieee_mode 1
		.amdhsa_fp16_overflow 0
		.amdhsa_workgroup_processor_mode 1
		.amdhsa_memory_ordered 1
		.amdhsa_forward_progress 1
		.amdhsa_shared_vgpr_count 0
		.amdhsa_exception_fp_ieee_invalid_op 0
		.amdhsa_exception_fp_denorm_src 0
		.amdhsa_exception_fp_ieee_div_zero 0
		.amdhsa_exception_fp_ieee_overflow 0
		.amdhsa_exception_fp_ieee_underflow 0
		.amdhsa_exception_fp_ieee_inexact 0
		.amdhsa_exception_int_div_zero 0
	.end_amdhsa_kernel
	.section	.text._Z16warp_load_kernelILj256ELj64ELj32ELN6hipcub17WarpLoadAlgorithmE2EdEvPT3_S3_,"axG",@progbits,_Z16warp_load_kernelILj256ELj64ELj32ELN6hipcub17WarpLoadAlgorithmE2EdEvPT3_S3_,comdat
.Lfunc_end36:
	.size	_Z16warp_load_kernelILj256ELj64ELj32ELN6hipcub17WarpLoadAlgorithmE2EdEvPT3_S3_, .Lfunc_end36-_Z16warp_load_kernelILj256ELj64ELj32ELN6hipcub17WarpLoadAlgorithmE2EdEvPT3_S3_
                                        ; -- End function
	.set _Z16warp_load_kernelILj256ELj64ELj32ELN6hipcub17WarpLoadAlgorithmE2EdEvPT3_S3_.num_vgpr, 143
	.set _Z16warp_load_kernelILj256ELj64ELj32ELN6hipcub17WarpLoadAlgorithmE2EdEvPT3_S3_.num_agpr, 0
	.set _Z16warp_load_kernelILj256ELj64ELj32ELN6hipcub17WarpLoadAlgorithmE2EdEvPT3_S3_.numbered_sgpr, 7
	.set _Z16warp_load_kernelILj256ELj64ELj32ELN6hipcub17WarpLoadAlgorithmE2EdEvPT3_S3_.num_named_barrier, 0
	.set _Z16warp_load_kernelILj256ELj64ELj32ELN6hipcub17WarpLoadAlgorithmE2EdEvPT3_S3_.private_seg_size, 0
	.set _Z16warp_load_kernelILj256ELj64ELj32ELN6hipcub17WarpLoadAlgorithmE2EdEvPT3_S3_.uses_vcc, 1
	.set _Z16warp_load_kernelILj256ELj64ELj32ELN6hipcub17WarpLoadAlgorithmE2EdEvPT3_S3_.uses_flat_scratch, 0
	.set _Z16warp_load_kernelILj256ELj64ELj32ELN6hipcub17WarpLoadAlgorithmE2EdEvPT3_S3_.has_dyn_sized_stack, 0
	.set _Z16warp_load_kernelILj256ELj64ELj32ELN6hipcub17WarpLoadAlgorithmE2EdEvPT3_S3_.has_recursion, 0
	.set _Z16warp_load_kernelILj256ELj64ELj32ELN6hipcub17WarpLoadAlgorithmE2EdEvPT3_S3_.has_indirect_call, 0
	.section	.AMDGPU.csdata,"",@progbits
; Kernel info:
; codeLenInByte = 3244
; TotalNumSgprs: 9
; NumVgprs: 143
; ScratchSize: 0
; MemoryBound: 1
; FloatMode: 240
; IeeeMode: 1
; LDSByteSize: 0 bytes/workgroup (compile time only)
; SGPRBlocks: 0
; VGPRBlocks: 17
; NumSGPRsForWavesPerEU: 9
; NumVGPRsForWavesPerEU: 143
; Occupancy: 7
; WaveLimiterHint : 1
; COMPUTE_PGM_RSRC2:SCRATCH_EN: 0
; COMPUTE_PGM_RSRC2:USER_SGPR: 6
; COMPUTE_PGM_RSRC2:TRAP_HANDLER: 0
; COMPUTE_PGM_RSRC2:TGID_X_EN: 1
; COMPUTE_PGM_RSRC2:TGID_Y_EN: 0
; COMPUTE_PGM_RSRC2:TGID_Z_EN: 0
; COMPUTE_PGM_RSRC2:TIDIG_COMP_CNT: 0
	.section	.text._Z16warp_load_kernelILj256ELj4ELj64ELN6hipcub17WarpLoadAlgorithmE0EiEvPT3_S3_,"axG",@progbits,_Z16warp_load_kernelILj256ELj4ELj64ELN6hipcub17WarpLoadAlgorithmE0EiEvPT3_S3_,comdat
	.protected	_Z16warp_load_kernelILj256ELj4ELj64ELN6hipcub17WarpLoadAlgorithmE0EiEvPT3_S3_ ; -- Begin function _Z16warp_load_kernelILj256ELj4ELj64ELN6hipcub17WarpLoadAlgorithmE0EiEvPT3_S3_
	.globl	_Z16warp_load_kernelILj256ELj4ELj64ELN6hipcub17WarpLoadAlgorithmE0EiEvPT3_S3_
	.p2align	8
	.type	_Z16warp_load_kernelILj256ELj4ELj64ELN6hipcub17WarpLoadAlgorithmE0EiEvPT3_S3_,@function
_Z16warp_load_kernelILj256ELj4ELj64ELN6hipcub17WarpLoadAlgorithmE0EiEvPT3_S3_: ; @_Z16warp_load_kernelILj256ELj4ELj64ELN6hipcub17WarpLoadAlgorithmE0EiEvPT3_S3_
; %bb.0:
	s_load_dwordx4 s[0:3], s[4:5], 0x0
	v_lshlrev_b32_e32 v1, 2, v0
	s_lshl_b32 s4, s6, 10
	v_mov_b32_e32 v6, 0
	v_mbcnt_lo_u32_b32 v3, -1, 0
	v_and_or_b32 v5, 0x300, v1, s4
	v_mov_b32_e32 v8, v6
	v_lshlrev_b32_e32 v3, 4, v3
	v_mov_b32_e32 v10, v6
	v_lshlrev_b64 v[1:2], 2, v[5:6]
	v_or_b32_e32 v5, s4, v0
	v_or_b32_e32 v7, 0x100, v5
	;; [unrolled: 1-line block ×3, first 2 shown]
	v_lshlrev_b64 v[11:12], 2, v[5:6]
	s_waitcnt lgkmcnt(0)
	v_add_co_u32 v1, vcc_lo, s0, v1
	v_add_co_ci_u32_e64 v2, null, s1, v2, vcc_lo
	v_or_b32_e32 v5, 0x300, v5
	v_add_co_u32 v1, vcc_lo, v1, v3
	v_add_co_ci_u32_e64 v2, null, 0, v2, vcc_lo
	v_lshlrev_b64 v[7:8], 2, v[7:8]
	v_lshlrev_b64 v[9:10], 2, v[9:10]
	v_lshlrev_b64 v[5:6], 2, v[5:6]
	global_load_dwordx4 v[1:4], v[1:2], off
	v_add_co_u32 v11, vcc_lo, s2, v11
	v_add_co_ci_u32_e64 v12, null, s3, v12, vcc_lo
	v_add_co_u32 v7, vcc_lo, s2, v7
	v_add_co_ci_u32_e64 v8, null, s3, v8, vcc_lo
	v_add_co_u32 v9, vcc_lo, s2, v9
	v_add_co_ci_u32_e64 v10, null, s3, v10, vcc_lo
	v_add_co_u32 v5, vcc_lo, s2, v5
	v_add_co_ci_u32_e64 v6, null, s3, v6, vcc_lo
	s_waitcnt vmcnt(0)
	global_store_dword v[11:12], v1, off
	global_store_dword v[7:8], v2, off
	;; [unrolled: 1-line block ×4, first 2 shown]
	s_endpgm
	.section	.rodata,"a",@progbits
	.p2align	6, 0x0
	.amdhsa_kernel _Z16warp_load_kernelILj256ELj4ELj64ELN6hipcub17WarpLoadAlgorithmE0EiEvPT3_S3_
		.amdhsa_group_segment_fixed_size 0
		.amdhsa_private_segment_fixed_size 0
		.amdhsa_kernarg_size 16
		.amdhsa_user_sgpr_count 6
		.amdhsa_user_sgpr_private_segment_buffer 1
		.amdhsa_user_sgpr_dispatch_ptr 0
		.amdhsa_user_sgpr_queue_ptr 0
		.amdhsa_user_sgpr_kernarg_segment_ptr 1
		.amdhsa_user_sgpr_dispatch_id 0
		.amdhsa_user_sgpr_flat_scratch_init 0
		.amdhsa_user_sgpr_private_segment_size 0
		.amdhsa_wavefront_size32 1
		.amdhsa_uses_dynamic_stack 0
		.amdhsa_system_sgpr_private_segment_wavefront_offset 0
		.amdhsa_system_sgpr_workgroup_id_x 1
		.amdhsa_system_sgpr_workgroup_id_y 0
		.amdhsa_system_sgpr_workgroup_id_z 0
		.amdhsa_system_sgpr_workgroup_info 0
		.amdhsa_system_vgpr_workitem_id 0
		.amdhsa_next_free_vgpr 13
		.amdhsa_next_free_sgpr 7
		.amdhsa_reserve_vcc 1
		.amdhsa_reserve_flat_scratch 0
		.amdhsa_float_round_mode_32 0
		.amdhsa_float_round_mode_16_64 0
		.amdhsa_float_denorm_mode_32 3
		.amdhsa_float_denorm_mode_16_64 3
		.amdhsa_dx10_clamp 1
		.amdhsa_ieee_mode 1
		.amdhsa_fp16_overflow 0
		.amdhsa_workgroup_processor_mode 1
		.amdhsa_memory_ordered 1
		.amdhsa_forward_progress 1
		.amdhsa_shared_vgpr_count 0
		.amdhsa_exception_fp_ieee_invalid_op 0
		.amdhsa_exception_fp_denorm_src 0
		.amdhsa_exception_fp_ieee_div_zero 0
		.amdhsa_exception_fp_ieee_overflow 0
		.amdhsa_exception_fp_ieee_underflow 0
		.amdhsa_exception_fp_ieee_inexact 0
		.amdhsa_exception_int_div_zero 0
	.end_amdhsa_kernel
	.section	.text._Z16warp_load_kernelILj256ELj4ELj64ELN6hipcub17WarpLoadAlgorithmE0EiEvPT3_S3_,"axG",@progbits,_Z16warp_load_kernelILj256ELj4ELj64ELN6hipcub17WarpLoadAlgorithmE0EiEvPT3_S3_,comdat
.Lfunc_end37:
	.size	_Z16warp_load_kernelILj256ELj4ELj64ELN6hipcub17WarpLoadAlgorithmE0EiEvPT3_S3_, .Lfunc_end37-_Z16warp_load_kernelILj256ELj4ELj64ELN6hipcub17WarpLoadAlgorithmE0EiEvPT3_S3_
                                        ; -- End function
	.set _Z16warp_load_kernelILj256ELj4ELj64ELN6hipcub17WarpLoadAlgorithmE0EiEvPT3_S3_.num_vgpr, 13
	.set _Z16warp_load_kernelILj256ELj4ELj64ELN6hipcub17WarpLoadAlgorithmE0EiEvPT3_S3_.num_agpr, 0
	.set _Z16warp_load_kernelILj256ELj4ELj64ELN6hipcub17WarpLoadAlgorithmE0EiEvPT3_S3_.numbered_sgpr, 7
	.set _Z16warp_load_kernelILj256ELj4ELj64ELN6hipcub17WarpLoadAlgorithmE0EiEvPT3_S3_.num_named_barrier, 0
	.set _Z16warp_load_kernelILj256ELj4ELj64ELN6hipcub17WarpLoadAlgorithmE0EiEvPT3_S3_.private_seg_size, 0
	.set _Z16warp_load_kernelILj256ELj4ELj64ELN6hipcub17WarpLoadAlgorithmE0EiEvPT3_S3_.uses_vcc, 1
	.set _Z16warp_load_kernelILj256ELj4ELj64ELN6hipcub17WarpLoadAlgorithmE0EiEvPT3_S3_.uses_flat_scratch, 0
	.set _Z16warp_load_kernelILj256ELj4ELj64ELN6hipcub17WarpLoadAlgorithmE0EiEvPT3_S3_.has_dyn_sized_stack, 0
	.set _Z16warp_load_kernelILj256ELj4ELj64ELN6hipcub17WarpLoadAlgorithmE0EiEvPT3_S3_.has_recursion, 0
	.set _Z16warp_load_kernelILj256ELj4ELj64ELN6hipcub17WarpLoadAlgorithmE0EiEvPT3_S3_.has_indirect_call, 0
	.section	.AMDGPU.csdata,"",@progbits
; Kernel info:
; codeLenInByte = 268
; TotalNumSgprs: 9
; NumVgprs: 13
; ScratchSize: 0
; MemoryBound: 0
; FloatMode: 240
; IeeeMode: 1
; LDSByteSize: 0 bytes/workgroup (compile time only)
; SGPRBlocks: 0
; VGPRBlocks: 1
; NumSGPRsForWavesPerEU: 9
; NumVGPRsForWavesPerEU: 13
; Occupancy: 16
; WaveLimiterHint : 0
; COMPUTE_PGM_RSRC2:SCRATCH_EN: 0
; COMPUTE_PGM_RSRC2:USER_SGPR: 6
; COMPUTE_PGM_RSRC2:TRAP_HANDLER: 0
; COMPUTE_PGM_RSRC2:TGID_X_EN: 1
; COMPUTE_PGM_RSRC2:TGID_Y_EN: 0
; COMPUTE_PGM_RSRC2:TGID_Z_EN: 0
; COMPUTE_PGM_RSRC2:TIDIG_COMP_CNT: 0
	.section	.text._Z16warp_load_kernelILj256ELj4ELj64ELN6hipcub17WarpLoadAlgorithmE1EiEvPT3_S3_,"axG",@progbits,_Z16warp_load_kernelILj256ELj4ELj64ELN6hipcub17WarpLoadAlgorithmE1EiEvPT3_S3_,comdat
	.protected	_Z16warp_load_kernelILj256ELj4ELj64ELN6hipcub17WarpLoadAlgorithmE1EiEvPT3_S3_ ; -- Begin function _Z16warp_load_kernelILj256ELj4ELj64ELN6hipcub17WarpLoadAlgorithmE1EiEvPT3_S3_
	.globl	_Z16warp_load_kernelILj256ELj4ELj64ELN6hipcub17WarpLoadAlgorithmE1EiEvPT3_S3_
	.p2align	8
	.type	_Z16warp_load_kernelILj256ELj4ELj64ELN6hipcub17WarpLoadAlgorithmE1EiEvPT3_S3_,@function
_Z16warp_load_kernelILj256ELj4ELj64ELN6hipcub17WarpLoadAlgorithmE1EiEvPT3_S3_: ; @_Z16warp_load_kernelILj256ELj4ELj64ELN6hipcub17WarpLoadAlgorithmE1EiEvPT3_S3_
; %bb.0:
	s_load_dwordx4 s[0:3], s[4:5], 0x0
	v_lshlrev_b32_e32 v1, 2, v0
	s_lshl_b32 s4, s6, 10
	v_mov_b32_e32 v2, 0
	v_mbcnt_lo_u32_b32 v5, -1, 0
	v_and_or_b32 v1, 0x300, v1, s4
	v_mov_b32_e32 v6, v2
	v_lshlrev_b64 v[3:4], 2, v[1:2]
	v_lshlrev_b32_e32 v1, 2, v5
	s_waitcnt lgkmcnt(0)
	v_add_co_u32 v3, vcc_lo, s0, v3
	v_add_co_ci_u32_e64 v4, null, s1, v4, vcc_lo
	v_add_co_u32 v3, vcc_lo, v3, v1
	v_add_co_ci_u32_e64 v4, null, 0, v4, vcc_lo
	v_or_b32_e32 v1, s4, v0
	s_clause 0x3
	global_load_dword v9, v[3:4], off
	global_load_dword v10, v[3:4], off offset:256
	global_load_dword v11, v[3:4], off offset:512
	;; [unrolled: 1-line block ×3, first 2 shown]
	v_mov_b32_e32 v4, v2
	v_or_b32_e32 v3, 0x100, v1
	v_or_b32_e32 v5, 0x200, v1
	v_lshlrev_b64 v[7:8], 2, v[1:2]
	v_or_b32_e32 v1, 0x300, v1
	v_lshlrev_b64 v[3:4], 2, v[3:4]
	v_lshlrev_b64 v[5:6], 2, v[5:6]
	;; [unrolled: 1-line block ×3, first 2 shown]
	v_add_co_u32 v7, vcc_lo, s2, v7
	v_add_co_ci_u32_e64 v8, null, s3, v8, vcc_lo
	v_add_co_u32 v2, vcc_lo, s2, v3
	v_add_co_ci_u32_e64 v3, null, s3, v4, vcc_lo
	;; [unrolled: 2-line block ×4, first 2 shown]
	s_waitcnt vmcnt(3)
	global_store_dword v[7:8], v9, off
	s_waitcnt vmcnt(2)
	global_store_dword v[2:3], v10, off
	;; [unrolled: 2-line block ×4, first 2 shown]
	s_endpgm
	.section	.rodata,"a",@progbits
	.p2align	6, 0x0
	.amdhsa_kernel _Z16warp_load_kernelILj256ELj4ELj64ELN6hipcub17WarpLoadAlgorithmE1EiEvPT3_S3_
		.amdhsa_group_segment_fixed_size 0
		.amdhsa_private_segment_fixed_size 0
		.amdhsa_kernarg_size 16
		.amdhsa_user_sgpr_count 6
		.amdhsa_user_sgpr_private_segment_buffer 1
		.amdhsa_user_sgpr_dispatch_ptr 0
		.amdhsa_user_sgpr_queue_ptr 0
		.amdhsa_user_sgpr_kernarg_segment_ptr 1
		.amdhsa_user_sgpr_dispatch_id 0
		.amdhsa_user_sgpr_flat_scratch_init 0
		.amdhsa_user_sgpr_private_segment_size 0
		.amdhsa_wavefront_size32 1
		.amdhsa_uses_dynamic_stack 0
		.amdhsa_system_sgpr_private_segment_wavefront_offset 0
		.amdhsa_system_sgpr_workgroup_id_x 1
		.amdhsa_system_sgpr_workgroup_id_y 0
		.amdhsa_system_sgpr_workgroup_id_z 0
		.amdhsa_system_sgpr_workgroup_info 0
		.amdhsa_system_vgpr_workitem_id 0
		.amdhsa_next_free_vgpr 13
		.amdhsa_next_free_sgpr 7
		.amdhsa_reserve_vcc 1
		.amdhsa_reserve_flat_scratch 0
		.amdhsa_float_round_mode_32 0
		.amdhsa_float_round_mode_16_64 0
		.amdhsa_float_denorm_mode_32 3
		.amdhsa_float_denorm_mode_16_64 3
		.amdhsa_dx10_clamp 1
		.amdhsa_ieee_mode 1
		.amdhsa_fp16_overflow 0
		.amdhsa_workgroup_processor_mode 1
		.amdhsa_memory_ordered 1
		.amdhsa_forward_progress 1
		.amdhsa_shared_vgpr_count 0
		.amdhsa_exception_fp_ieee_invalid_op 0
		.amdhsa_exception_fp_denorm_src 0
		.amdhsa_exception_fp_ieee_div_zero 0
		.amdhsa_exception_fp_ieee_overflow 0
		.amdhsa_exception_fp_ieee_underflow 0
		.amdhsa_exception_fp_ieee_inexact 0
		.amdhsa_exception_int_div_zero 0
	.end_amdhsa_kernel
	.section	.text._Z16warp_load_kernelILj256ELj4ELj64ELN6hipcub17WarpLoadAlgorithmE1EiEvPT3_S3_,"axG",@progbits,_Z16warp_load_kernelILj256ELj4ELj64ELN6hipcub17WarpLoadAlgorithmE1EiEvPT3_S3_,comdat
.Lfunc_end38:
	.size	_Z16warp_load_kernelILj256ELj4ELj64ELN6hipcub17WarpLoadAlgorithmE1EiEvPT3_S3_, .Lfunc_end38-_Z16warp_load_kernelILj256ELj4ELj64ELN6hipcub17WarpLoadAlgorithmE1EiEvPT3_S3_
                                        ; -- End function
	.set _Z16warp_load_kernelILj256ELj4ELj64ELN6hipcub17WarpLoadAlgorithmE1EiEvPT3_S3_.num_vgpr, 13
	.set _Z16warp_load_kernelILj256ELj4ELj64ELN6hipcub17WarpLoadAlgorithmE1EiEvPT3_S3_.num_agpr, 0
	.set _Z16warp_load_kernelILj256ELj4ELj64ELN6hipcub17WarpLoadAlgorithmE1EiEvPT3_S3_.numbered_sgpr, 7
	.set _Z16warp_load_kernelILj256ELj4ELj64ELN6hipcub17WarpLoadAlgorithmE1EiEvPT3_S3_.num_named_barrier, 0
	.set _Z16warp_load_kernelILj256ELj4ELj64ELN6hipcub17WarpLoadAlgorithmE1EiEvPT3_S3_.private_seg_size, 0
	.set _Z16warp_load_kernelILj256ELj4ELj64ELN6hipcub17WarpLoadAlgorithmE1EiEvPT3_S3_.uses_vcc, 1
	.set _Z16warp_load_kernelILj256ELj4ELj64ELN6hipcub17WarpLoadAlgorithmE1EiEvPT3_S3_.uses_flat_scratch, 0
	.set _Z16warp_load_kernelILj256ELj4ELj64ELN6hipcub17WarpLoadAlgorithmE1EiEvPT3_S3_.has_dyn_sized_stack, 0
	.set _Z16warp_load_kernelILj256ELj4ELj64ELN6hipcub17WarpLoadAlgorithmE1EiEvPT3_S3_.has_recursion, 0
	.set _Z16warp_load_kernelILj256ELj4ELj64ELN6hipcub17WarpLoadAlgorithmE1EiEvPT3_S3_.has_indirect_call, 0
	.section	.AMDGPU.csdata,"",@progbits
; Kernel info:
; codeLenInByte = 308
; TotalNumSgprs: 9
; NumVgprs: 13
; ScratchSize: 0
; MemoryBound: 0
; FloatMode: 240
; IeeeMode: 1
; LDSByteSize: 0 bytes/workgroup (compile time only)
; SGPRBlocks: 0
; VGPRBlocks: 1
; NumSGPRsForWavesPerEU: 9
; NumVGPRsForWavesPerEU: 13
; Occupancy: 16
; WaveLimiterHint : 1
; COMPUTE_PGM_RSRC2:SCRATCH_EN: 0
; COMPUTE_PGM_RSRC2:USER_SGPR: 6
; COMPUTE_PGM_RSRC2:TRAP_HANDLER: 0
; COMPUTE_PGM_RSRC2:TGID_X_EN: 1
; COMPUTE_PGM_RSRC2:TGID_Y_EN: 0
; COMPUTE_PGM_RSRC2:TGID_Z_EN: 0
; COMPUTE_PGM_RSRC2:TIDIG_COMP_CNT: 0
	.section	.text._Z16warp_load_kernelILj256ELj4ELj64ELN6hipcub17WarpLoadAlgorithmE2EiEvPT3_S3_,"axG",@progbits,_Z16warp_load_kernelILj256ELj4ELj64ELN6hipcub17WarpLoadAlgorithmE2EiEvPT3_S3_,comdat
	.protected	_Z16warp_load_kernelILj256ELj4ELj64ELN6hipcub17WarpLoadAlgorithmE2EiEvPT3_S3_ ; -- Begin function _Z16warp_load_kernelILj256ELj4ELj64ELN6hipcub17WarpLoadAlgorithmE2EiEvPT3_S3_
	.globl	_Z16warp_load_kernelILj256ELj4ELj64ELN6hipcub17WarpLoadAlgorithmE2EiEvPT3_S3_
	.p2align	8
	.type	_Z16warp_load_kernelILj256ELj4ELj64ELN6hipcub17WarpLoadAlgorithmE2EiEvPT3_S3_,@function
_Z16warp_load_kernelILj256ELj4ELj64ELN6hipcub17WarpLoadAlgorithmE2EiEvPT3_S3_: ; @_Z16warp_load_kernelILj256ELj4ELj64ELN6hipcub17WarpLoadAlgorithmE2EiEvPT3_S3_
; %bb.0:
	s_load_dwordx4 s[0:3], s[4:5], 0x0
	v_lshlrev_b32_e32 v1, 2, v0
	s_lshl_b32 s4, s6, 10
	v_mov_b32_e32 v6, 0
	v_mbcnt_lo_u32_b32 v3, -1, 0
	v_and_or_b32 v5, 0x300, v1, s4
	v_mov_b32_e32 v8, v6
	v_lshlrev_b32_e32 v3, 4, v3
	v_mov_b32_e32 v10, v6
	v_lshlrev_b64 v[1:2], 2, v[5:6]
	v_or_b32_e32 v5, s4, v0
	v_or_b32_e32 v7, 0x100, v5
	;; [unrolled: 1-line block ×3, first 2 shown]
	v_lshlrev_b64 v[11:12], 2, v[5:6]
	s_waitcnt lgkmcnt(0)
	v_add_co_u32 v1, vcc_lo, s0, v1
	v_add_co_ci_u32_e64 v2, null, s1, v2, vcc_lo
	v_or_b32_e32 v5, 0x300, v5
	v_add_co_u32 v1, vcc_lo, v1, v3
	v_add_co_ci_u32_e64 v2, null, 0, v2, vcc_lo
	v_lshlrev_b64 v[7:8], 2, v[7:8]
	v_lshlrev_b64 v[9:10], 2, v[9:10]
	v_lshlrev_b64 v[5:6], 2, v[5:6]
	global_load_dwordx4 v[1:4], v[1:2], off
	v_add_co_u32 v11, vcc_lo, s2, v11
	v_add_co_ci_u32_e64 v12, null, s3, v12, vcc_lo
	v_add_co_u32 v7, vcc_lo, s2, v7
	v_add_co_ci_u32_e64 v8, null, s3, v8, vcc_lo
	;; [unrolled: 2-line block ×4, first 2 shown]
	s_waitcnt vmcnt(0)
	global_store_dword v[11:12], v1, off
	global_store_dword v[7:8], v2, off
	;; [unrolled: 1-line block ×4, first 2 shown]
	s_endpgm
	.section	.rodata,"a",@progbits
	.p2align	6, 0x0
	.amdhsa_kernel _Z16warp_load_kernelILj256ELj4ELj64ELN6hipcub17WarpLoadAlgorithmE2EiEvPT3_S3_
		.amdhsa_group_segment_fixed_size 0
		.amdhsa_private_segment_fixed_size 0
		.amdhsa_kernarg_size 16
		.amdhsa_user_sgpr_count 6
		.amdhsa_user_sgpr_private_segment_buffer 1
		.amdhsa_user_sgpr_dispatch_ptr 0
		.amdhsa_user_sgpr_queue_ptr 0
		.amdhsa_user_sgpr_kernarg_segment_ptr 1
		.amdhsa_user_sgpr_dispatch_id 0
		.amdhsa_user_sgpr_flat_scratch_init 0
		.amdhsa_user_sgpr_private_segment_size 0
		.amdhsa_wavefront_size32 1
		.amdhsa_uses_dynamic_stack 0
		.amdhsa_system_sgpr_private_segment_wavefront_offset 0
		.amdhsa_system_sgpr_workgroup_id_x 1
		.amdhsa_system_sgpr_workgroup_id_y 0
		.amdhsa_system_sgpr_workgroup_id_z 0
		.amdhsa_system_sgpr_workgroup_info 0
		.amdhsa_system_vgpr_workitem_id 0
		.amdhsa_next_free_vgpr 13
		.amdhsa_next_free_sgpr 7
		.amdhsa_reserve_vcc 1
		.amdhsa_reserve_flat_scratch 0
		.amdhsa_float_round_mode_32 0
		.amdhsa_float_round_mode_16_64 0
		.amdhsa_float_denorm_mode_32 3
		.amdhsa_float_denorm_mode_16_64 3
		.amdhsa_dx10_clamp 1
		.amdhsa_ieee_mode 1
		.amdhsa_fp16_overflow 0
		.amdhsa_workgroup_processor_mode 1
		.amdhsa_memory_ordered 1
		.amdhsa_forward_progress 1
		.amdhsa_shared_vgpr_count 0
		.amdhsa_exception_fp_ieee_invalid_op 0
		.amdhsa_exception_fp_denorm_src 0
		.amdhsa_exception_fp_ieee_div_zero 0
		.amdhsa_exception_fp_ieee_overflow 0
		.amdhsa_exception_fp_ieee_underflow 0
		.amdhsa_exception_fp_ieee_inexact 0
		.amdhsa_exception_int_div_zero 0
	.end_amdhsa_kernel
	.section	.text._Z16warp_load_kernelILj256ELj4ELj64ELN6hipcub17WarpLoadAlgorithmE2EiEvPT3_S3_,"axG",@progbits,_Z16warp_load_kernelILj256ELj4ELj64ELN6hipcub17WarpLoadAlgorithmE2EiEvPT3_S3_,comdat
.Lfunc_end39:
	.size	_Z16warp_load_kernelILj256ELj4ELj64ELN6hipcub17WarpLoadAlgorithmE2EiEvPT3_S3_, .Lfunc_end39-_Z16warp_load_kernelILj256ELj4ELj64ELN6hipcub17WarpLoadAlgorithmE2EiEvPT3_S3_
                                        ; -- End function
	.set _Z16warp_load_kernelILj256ELj4ELj64ELN6hipcub17WarpLoadAlgorithmE2EiEvPT3_S3_.num_vgpr, 13
	.set _Z16warp_load_kernelILj256ELj4ELj64ELN6hipcub17WarpLoadAlgorithmE2EiEvPT3_S3_.num_agpr, 0
	.set _Z16warp_load_kernelILj256ELj4ELj64ELN6hipcub17WarpLoadAlgorithmE2EiEvPT3_S3_.numbered_sgpr, 7
	.set _Z16warp_load_kernelILj256ELj4ELj64ELN6hipcub17WarpLoadAlgorithmE2EiEvPT3_S3_.num_named_barrier, 0
	.set _Z16warp_load_kernelILj256ELj4ELj64ELN6hipcub17WarpLoadAlgorithmE2EiEvPT3_S3_.private_seg_size, 0
	.set _Z16warp_load_kernelILj256ELj4ELj64ELN6hipcub17WarpLoadAlgorithmE2EiEvPT3_S3_.uses_vcc, 1
	.set _Z16warp_load_kernelILj256ELj4ELj64ELN6hipcub17WarpLoadAlgorithmE2EiEvPT3_S3_.uses_flat_scratch, 0
	.set _Z16warp_load_kernelILj256ELj4ELj64ELN6hipcub17WarpLoadAlgorithmE2EiEvPT3_S3_.has_dyn_sized_stack, 0
	.set _Z16warp_load_kernelILj256ELj4ELj64ELN6hipcub17WarpLoadAlgorithmE2EiEvPT3_S3_.has_recursion, 0
	.set _Z16warp_load_kernelILj256ELj4ELj64ELN6hipcub17WarpLoadAlgorithmE2EiEvPT3_S3_.has_indirect_call, 0
	.section	.AMDGPU.csdata,"",@progbits
; Kernel info:
; codeLenInByte = 268
; TotalNumSgprs: 9
; NumVgprs: 13
; ScratchSize: 0
; MemoryBound: 0
; FloatMode: 240
; IeeeMode: 1
; LDSByteSize: 0 bytes/workgroup (compile time only)
; SGPRBlocks: 0
; VGPRBlocks: 1
; NumSGPRsForWavesPerEU: 9
; NumVGPRsForWavesPerEU: 13
; Occupancy: 16
; WaveLimiterHint : 0
; COMPUTE_PGM_RSRC2:SCRATCH_EN: 0
; COMPUTE_PGM_RSRC2:USER_SGPR: 6
; COMPUTE_PGM_RSRC2:TRAP_HANDLER: 0
; COMPUTE_PGM_RSRC2:TGID_X_EN: 1
; COMPUTE_PGM_RSRC2:TGID_Y_EN: 0
; COMPUTE_PGM_RSRC2:TGID_Z_EN: 0
; COMPUTE_PGM_RSRC2:TIDIG_COMP_CNT: 0
	.section	.text._Z16warp_load_kernelILj256ELj4ELj64ELN6hipcub17WarpLoadAlgorithmE3EiEvPT3_S3_,"axG",@progbits,_Z16warp_load_kernelILj256ELj4ELj64ELN6hipcub17WarpLoadAlgorithmE3EiEvPT3_S3_,comdat
	.protected	_Z16warp_load_kernelILj256ELj4ELj64ELN6hipcub17WarpLoadAlgorithmE3EiEvPT3_S3_ ; -- Begin function _Z16warp_load_kernelILj256ELj4ELj64ELN6hipcub17WarpLoadAlgorithmE3EiEvPT3_S3_
	.globl	_Z16warp_load_kernelILj256ELj4ELj64ELN6hipcub17WarpLoadAlgorithmE3EiEvPT3_S3_
	.p2align	8
	.type	_Z16warp_load_kernelILj256ELj4ELj64ELN6hipcub17WarpLoadAlgorithmE3EiEvPT3_S3_,@function
_Z16warp_load_kernelILj256ELj4ELj64ELN6hipcub17WarpLoadAlgorithmE3EiEvPT3_S3_: ; @_Z16warp_load_kernelILj256ELj4ELj64ELN6hipcub17WarpLoadAlgorithmE3EiEvPT3_S3_
; %bb.0:
	s_load_dwordx4 s[0:3], s[4:5], 0x0
	v_lshrrev_b32_e32 v3, 6, v0
	s_lshl_b32 s4, s6, 10
	v_mov_b32_e32 v5, 0
	v_mbcnt_lo_u32_b32 v6, -1, 0
	v_lshl_or_b32 v4, v3, 8, s4
	v_lshlrev_b32_e32 v3, 10, v3
	v_mov_b32_e32 v7, v5
	v_lshlrev_b32_e32 v8, 2, v6
	v_lshlrev_b64 v[1:2], 2, v[4:5]
	v_or_b32_e32 v4, s4, v0
	v_or_b32_e32 v15, v3, v8
	v_lshl_or_b32 v3, v6, 4, v3
	v_or_b32_e32 v0, 0x100, v4
	v_or_b32_e32 v6, 0x200, v4
	s_waitcnt lgkmcnt(0)
	v_add_co_u32 v1, vcc_lo, s0, v1
	v_add_co_ci_u32_e64 v2, null, s1, v2, vcc_lo
	v_lshlrev_b64 v[6:7], 2, v[6:7]
	v_add_co_u32 v1, vcc_lo, v1, v8
	v_add_co_ci_u32_e64 v2, null, 0, v2, vcc_lo
	v_lshlrev_b64 v[8:9], 2, v[4:5]
	v_or_b32_e32 v4, 0x300, v4
	s_clause 0x3
	global_load_dword v12, v[1:2], off
	global_load_dword v13, v[1:2], off offset:256
	global_load_dword v14, v[1:2], off offset:512
	;; [unrolled: 1-line block ×3, first 2 shown]
	v_mov_b32_e32 v1, v5
	s_waitcnt vmcnt(2)
	ds_write2st64_b32 v15, v12, v13 offset1:1
	s_waitcnt vmcnt(0)
	ds_write2st64_b32 v15, v14, v2 offset0:2 offset1:3
	v_lshlrev_b64 v[10:11], 2, v[0:1]
	; wave barrier
	ds_read_b128 v[0:3], v3
	v_lshlrev_b64 v[4:5], 2, v[4:5]
	v_add_co_u32 v8, vcc_lo, s2, v8
	v_add_co_ci_u32_e64 v9, null, s3, v9, vcc_lo
	v_add_co_u32 v10, vcc_lo, s2, v10
	v_add_co_ci_u32_e64 v11, null, s3, v11, vcc_lo
	v_add_co_u32 v6, vcc_lo, s2, v6
	v_add_co_ci_u32_e64 v7, null, s3, v7, vcc_lo
	v_add_co_u32 v4, vcc_lo, s2, v4
	v_add_co_ci_u32_e64 v5, null, s3, v5, vcc_lo
	s_waitcnt lgkmcnt(0)
	global_store_dword v[8:9], v0, off
	global_store_dword v[10:11], v1, off
	;; [unrolled: 1-line block ×4, first 2 shown]
	s_endpgm
	.section	.rodata,"a",@progbits
	.p2align	6, 0x0
	.amdhsa_kernel _Z16warp_load_kernelILj256ELj4ELj64ELN6hipcub17WarpLoadAlgorithmE3EiEvPT3_S3_
		.amdhsa_group_segment_fixed_size 4096
		.amdhsa_private_segment_fixed_size 0
		.amdhsa_kernarg_size 16
		.amdhsa_user_sgpr_count 6
		.amdhsa_user_sgpr_private_segment_buffer 1
		.amdhsa_user_sgpr_dispatch_ptr 0
		.amdhsa_user_sgpr_queue_ptr 0
		.amdhsa_user_sgpr_kernarg_segment_ptr 1
		.amdhsa_user_sgpr_dispatch_id 0
		.amdhsa_user_sgpr_flat_scratch_init 0
		.amdhsa_user_sgpr_private_segment_size 0
		.amdhsa_wavefront_size32 1
		.amdhsa_uses_dynamic_stack 0
		.amdhsa_system_sgpr_private_segment_wavefront_offset 0
		.amdhsa_system_sgpr_workgroup_id_x 1
		.amdhsa_system_sgpr_workgroup_id_y 0
		.amdhsa_system_sgpr_workgroup_id_z 0
		.amdhsa_system_sgpr_workgroup_info 0
		.amdhsa_system_vgpr_workitem_id 0
		.amdhsa_next_free_vgpr 16
		.amdhsa_next_free_sgpr 7
		.amdhsa_reserve_vcc 1
		.amdhsa_reserve_flat_scratch 0
		.amdhsa_float_round_mode_32 0
		.amdhsa_float_round_mode_16_64 0
		.amdhsa_float_denorm_mode_32 3
		.amdhsa_float_denorm_mode_16_64 3
		.amdhsa_dx10_clamp 1
		.amdhsa_ieee_mode 1
		.amdhsa_fp16_overflow 0
		.amdhsa_workgroup_processor_mode 1
		.amdhsa_memory_ordered 1
		.amdhsa_forward_progress 1
		.amdhsa_shared_vgpr_count 0
		.amdhsa_exception_fp_ieee_invalid_op 0
		.amdhsa_exception_fp_denorm_src 0
		.amdhsa_exception_fp_ieee_div_zero 0
		.amdhsa_exception_fp_ieee_overflow 0
		.amdhsa_exception_fp_ieee_underflow 0
		.amdhsa_exception_fp_ieee_inexact 0
		.amdhsa_exception_int_div_zero 0
	.end_amdhsa_kernel
	.section	.text._Z16warp_load_kernelILj256ELj4ELj64ELN6hipcub17WarpLoadAlgorithmE3EiEvPT3_S3_,"axG",@progbits,_Z16warp_load_kernelILj256ELj4ELj64ELN6hipcub17WarpLoadAlgorithmE3EiEvPT3_S3_,comdat
.Lfunc_end40:
	.size	_Z16warp_load_kernelILj256ELj4ELj64ELN6hipcub17WarpLoadAlgorithmE3EiEvPT3_S3_, .Lfunc_end40-_Z16warp_load_kernelILj256ELj4ELj64ELN6hipcub17WarpLoadAlgorithmE3EiEvPT3_S3_
                                        ; -- End function
	.set _Z16warp_load_kernelILj256ELj4ELj64ELN6hipcub17WarpLoadAlgorithmE3EiEvPT3_S3_.num_vgpr, 16
	.set _Z16warp_load_kernelILj256ELj4ELj64ELN6hipcub17WarpLoadAlgorithmE3EiEvPT3_S3_.num_agpr, 0
	.set _Z16warp_load_kernelILj256ELj4ELj64ELN6hipcub17WarpLoadAlgorithmE3EiEvPT3_S3_.numbered_sgpr, 7
	.set _Z16warp_load_kernelILj256ELj4ELj64ELN6hipcub17WarpLoadAlgorithmE3EiEvPT3_S3_.num_named_barrier, 0
	.set _Z16warp_load_kernelILj256ELj4ELj64ELN6hipcub17WarpLoadAlgorithmE3EiEvPT3_S3_.private_seg_size, 0
	.set _Z16warp_load_kernelILj256ELj4ELj64ELN6hipcub17WarpLoadAlgorithmE3EiEvPT3_S3_.uses_vcc, 1
	.set _Z16warp_load_kernelILj256ELj4ELj64ELN6hipcub17WarpLoadAlgorithmE3EiEvPT3_S3_.uses_flat_scratch, 0
	.set _Z16warp_load_kernelILj256ELj4ELj64ELN6hipcub17WarpLoadAlgorithmE3EiEvPT3_S3_.has_dyn_sized_stack, 0
	.set _Z16warp_load_kernelILj256ELj4ELj64ELN6hipcub17WarpLoadAlgorithmE3EiEvPT3_S3_.has_recursion, 0
	.set _Z16warp_load_kernelILj256ELj4ELj64ELN6hipcub17WarpLoadAlgorithmE3EiEvPT3_S3_.has_indirect_call, 0
	.section	.AMDGPU.csdata,"",@progbits
; Kernel info:
; codeLenInByte = 340
; TotalNumSgprs: 9
; NumVgprs: 16
; ScratchSize: 0
; MemoryBound: 0
; FloatMode: 240
; IeeeMode: 1
; LDSByteSize: 4096 bytes/workgroup (compile time only)
; SGPRBlocks: 0
; VGPRBlocks: 1
; NumSGPRsForWavesPerEU: 9
; NumVGPRsForWavesPerEU: 16
; Occupancy: 16
; WaveLimiterHint : 1
; COMPUTE_PGM_RSRC2:SCRATCH_EN: 0
; COMPUTE_PGM_RSRC2:USER_SGPR: 6
; COMPUTE_PGM_RSRC2:TRAP_HANDLER: 0
; COMPUTE_PGM_RSRC2:TGID_X_EN: 1
; COMPUTE_PGM_RSRC2:TGID_Y_EN: 0
; COMPUTE_PGM_RSRC2:TGID_Z_EN: 0
; COMPUTE_PGM_RSRC2:TIDIG_COMP_CNT: 0
	.section	.text._Z16warp_load_kernelILj256ELj8ELj64ELN6hipcub17WarpLoadAlgorithmE0EiEvPT3_S3_,"axG",@progbits,_Z16warp_load_kernelILj256ELj8ELj64ELN6hipcub17WarpLoadAlgorithmE0EiEvPT3_S3_,comdat
	.protected	_Z16warp_load_kernelILj256ELj8ELj64ELN6hipcub17WarpLoadAlgorithmE0EiEvPT3_S3_ ; -- Begin function _Z16warp_load_kernelILj256ELj8ELj64ELN6hipcub17WarpLoadAlgorithmE0EiEvPT3_S3_
	.globl	_Z16warp_load_kernelILj256ELj8ELj64ELN6hipcub17WarpLoadAlgorithmE0EiEvPT3_S3_
	.p2align	8
	.type	_Z16warp_load_kernelILj256ELj8ELj64ELN6hipcub17WarpLoadAlgorithmE0EiEvPT3_S3_,@function
_Z16warp_load_kernelILj256ELj8ELj64ELN6hipcub17WarpLoadAlgorithmE0EiEvPT3_S3_: ; @_Z16warp_load_kernelILj256ELj8ELj64ELN6hipcub17WarpLoadAlgorithmE0EiEvPT3_S3_
; %bb.0:
	s_load_dwordx4 s[0:3], s[4:5], 0x0
	v_lshlrev_b32_e32 v1, 3, v0
	s_lshl_b32 s4, s6, 11
	v_mov_b32_e32 v10, 0
	v_mbcnt_lo_u32_b32 v3, -1, 0
	v_and_or_b32 v9, 0x600, v1, s4
	v_mov_b32_e32 v12, v10
	v_lshlrev_b32_e32 v3, 5, v3
	v_mov_b32_e32 v14, v10
	v_lshlrev_b64 v[1:2], 2, v[9:10]
	v_or_b32_e32 v9, s4, v0
	v_mov_b32_e32 v16, v10
	v_mov_b32_e32 v18, v10
	v_mov_b32_e32 v20, v10
	v_or_b32_e32 v11, 0x200, v9
	v_or_b32_e32 v13, 0x300, v9
	v_lshlrev_b64 v[21:22], 2, v[9:10]
	s_waitcnt lgkmcnt(0)
	v_add_co_u32 v1, vcc_lo, s0, v1
	v_add_co_ci_u32_e64 v2, null, s1, v2, vcc_lo
	v_or_b32_e32 v15, 0x400, v9
	v_add_co_u32 v5, vcc_lo, v1, v3
	v_add_co_ci_u32_e64 v6, null, 0, v2, vcc_lo
	v_lshlrev_b64 v[11:12], 2, v[11:12]
	v_or_b32_e32 v17, 0x500, v9
	v_lshlrev_b64 v[13:14], 2, v[13:14]
	s_clause 0x1
	global_load_dwordx4 v[1:4], v[5:6], off
	global_load_dwordx4 v[5:8], v[5:6], off offset:16
	v_or_b32_e32 v19, 0x600, v9
	v_lshlrev_b64 v[15:16], 2, v[15:16]
	v_add_co_u32 v21, vcc_lo, s2, v21
	v_or_b32_e32 v9, 0x700, v9
	v_lshlrev_b64 v[17:18], 2, v[17:18]
	v_add_co_ci_u32_e64 v22, null, s3, v22, vcc_lo
	v_add_co_u32 v11, vcc_lo, s2, v11
	v_lshlrev_b64 v[19:20], 2, v[19:20]
	v_add_co_ci_u32_e64 v12, null, s3, v12, vcc_lo
	v_add_co_u32 v13, vcc_lo, s2, v13
	;; [unrolled: 3-line block ×3, first 2 shown]
	v_add_co_ci_u32_e64 v16, null, s3, v16, vcc_lo
	v_add_co_u32 v17, vcc_lo, s2, v17
	v_add_co_ci_u32_e64 v18, null, s3, v18, vcc_lo
	v_add_co_u32 v19, vcc_lo, s2, v19
	;; [unrolled: 2-line block ×3, first 2 shown]
	v_add_co_ci_u32_e64 v10, null, s3, v10, vcc_lo
	s_waitcnt vmcnt(1)
	global_store_dword v[21:22], v1, off
	global_store_dword v[21:22], v2, off offset:1024
	global_store_dword v[11:12], v3, off
	global_store_dword v[13:14], v4, off
	s_waitcnt vmcnt(0)
	global_store_dword v[15:16], v5, off
	global_store_dword v[17:18], v6, off
	;; [unrolled: 1-line block ×4, first 2 shown]
	s_endpgm
	.section	.rodata,"a",@progbits
	.p2align	6, 0x0
	.amdhsa_kernel _Z16warp_load_kernelILj256ELj8ELj64ELN6hipcub17WarpLoadAlgorithmE0EiEvPT3_S3_
		.amdhsa_group_segment_fixed_size 0
		.amdhsa_private_segment_fixed_size 0
		.amdhsa_kernarg_size 16
		.amdhsa_user_sgpr_count 6
		.amdhsa_user_sgpr_private_segment_buffer 1
		.amdhsa_user_sgpr_dispatch_ptr 0
		.amdhsa_user_sgpr_queue_ptr 0
		.amdhsa_user_sgpr_kernarg_segment_ptr 1
		.amdhsa_user_sgpr_dispatch_id 0
		.amdhsa_user_sgpr_flat_scratch_init 0
		.amdhsa_user_sgpr_private_segment_size 0
		.amdhsa_wavefront_size32 1
		.amdhsa_uses_dynamic_stack 0
		.amdhsa_system_sgpr_private_segment_wavefront_offset 0
		.amdhsa_system_sgpr_workgroup_id_x 1
		.amdhsa_system_sgpr_workgroup_id_y 0
		.amdhsa_system_sgpr_workgroup_id_z 0
		.amdhsa_system_sgpr_workgroup_info 0
		.amdhsa_system_vgpr_workitem_id 0
		.amdhsa_next_free_vgpr 23
		.amdhsa_next_free_sgpr 7
		.amdhsa_reserve_vcc 1
		.amdhsa_reserve_flat_scratch 0
		.amdhsa_float_round_mode_32 0
		.amdhsa_float_round_mode_16_64 0
		.amdhsa_float_denorm_mode_32 3
		.amdhsa_float_denorm_mode_16_64 3
		.amdhsa_dx10_clamp 1
		.amdhsa_ieee_mode 1
		.amdhsa_fp16_overflow 0
		.amdhsa_workgroup_processor_mode 1
		.amdhsa_memory_ordered 1
		.amdhsa_forward_progress 1
		.amdhsa_shared_vgpr_count 0
		.amdhsa_exception_fp_ieee_invalid_op 0
		.amdhsa_exception_fp_denorm_src 0
		.amdhsa_exception_fp_ieee_div_zero 0
		.amdhsa_exception_fp_ieee_overflow 0
		.amdhsa_exception_fp_ieee_underflow 0
		.amdhsa_exception_fp_ieee_inexact 0
		.amdhsa_exception_int_div_zero 0
	.end_amdhsa_kernel
	.section	.text._Z16warp_load_kernelILj256ELj8ELj64ELN6hipcub17WarpLoadAlgorithmE0EiEvPT3_S3_,"axG",@progbits,_Z16warp_load_kernelILj256ELj8ELj64ELN6hipcub17WarpLoadAlgorithmE0EiEvPT3_S3_,comdat
.Lfunc_end41:
	.size	_Z16warp_load_kernelILj256ELj8ELj64ELN6hipcub17WarpLoadAlgorithmE0EiEvPT3_S3_, .Lfunc_end41-_Z16warp_load_kernelILj256ELj8ELj64ELN6hipcub17WarpLoadAlgorithmE0EiEvPT3_S3_
                                        ; -- End function
	.set _Z16warp_load_kernelILj256ELj8ELj64ELN6hipcub17WarpLoadAlgorithmE0EiEvPT3_S3_.num_vgpr, 23
	.set _Z16warp_load_kernelILj256ELj8ELj64ELN6hipcub17WarpLoadAlgorithmE0EiEvPT3_S3_.num_agpr, 0
	.set _Z16warp_load_kernelILj256ELj8ELj64ELN6hipcub17WarpLoadAlgorithmE0EiEvPT3_S3_.numbered_sgpr, 7
	.set _Z16warp_load_kernelILj256ELj8ELj64ELN6hipcub17WarpLoadAlgorithmE0EiEvPT3_S3_.num_named_barrier, 0
	.set _Z16warp_load_kernelILj256ELj8ELj64ELN6hipcub17WarpLoadAlgorithmE0EiEvPT3_S3_.private_seg_size, 0
	.set _Z16warp_load_kernelILj256ELj8ELj64ELN6hipcub17WarpLoadAlgorithmE0EiEvPT3_S3_.uses_vcc, 1
	.set _Z16warp_load_kernelILj256ELj8ELj64ELN6hipcub17WarpLoadAlgorithmE0EiEvPT3_S3_.uses_flat_scratch, 0
	.set _Z16warp_load_kernelILj256ELj8ELj64ELN6hipcub17WarpLoadAlgorithmE0EiEvPT3_S3_.has_dyn_sized_stack, 0
	.set _Z16warp_load_kernelILj256ELj8ELj64ELN6hipcub17WarpLoadAlgorithmE0EiEvPT3_S3_.has_recursion, 0
	.set _Z16warp_load_kernelILj256ELj8ELj64ELN6hipcub17WarpLoadAlgorithmE0EiEvPT3_S3_.has_indirect_call, 0
	.section	.AMDGPU.csdata,"",@progbits
; Kernel info:
; codeLenInByte = 424
; TotalNumSgprs: 9
; NumVgprs: 23
; ScratchSize: 0
; MemoryBound: 0
; FloatMode: 240
; IeeeMode: 1
; LDSByteSize: 0 bytes/workgroup (compile time only)
; SGPRBlocks: 0
; VGPRBlocks: 2
; NumSGPRsForWavesPerEU: 9
; NumVGPRsForWavesPerEU: 23
; Occupancy: 16
; WaveLimiterHint : 1
; COMPUTE_PGM_RSRC2:SCRATCH_EN: 0
; COMPUTE_PGM_RSRC2:USER_SGPR: 6
; COMPUTE_PGM_RSRC2:TRAP_HANDLER: 0
; COMPUTE_PGM_RSRC2:TGID_X_EN: 1
; COMPUTE_PGM_RSRC2:TGID_Y_EN: 0
; COMPUTE_PGM_RSRC2:TGID_Z_EN: 0
; COMPUTE_PGM_RSRC2:TIDIG_COMP_CNT: 0
	.section	.text._Z16warp_load_kernelILj256ELj8ELj64ELN6hipcub17WarpLoadAlgorithmE1EiEvPT3_S3_,"axG",@progbits,_Z16warp_load_kernelILj256ELj8ELj64ELN6hipcub17WarpLoadAlgorithmE1EiEvPT3_S3_,comdat
	.protected	_Z16warp_load_kernelILj256ELj8ELj64ELN6hipcub17WarpLoadAlgorithmE1EiEvPT3_S3_ ; -- Begin function _Z16warp_load_kernelILj256ELj8ELj64ELN6hipcub17WarpLoadAlgorithmE1EiEvPT3_S3_
	.globl	_Z16warp_load_kernelILj256ELj8ELj64ELN6hipcub17WarpLoadAlgorithmE1EiEvPT3_S3_
	.p2align	8
	.type	_Z16warp_load_kernelILj256ELj8ELj64ELN6hipcub17WarpLoadAlgorithmE1EiEvPT3_S3_,@function
_Z16warp_load_kernelILj256ELj8ELj64ELN6hipcub17WarpLoadAlgorithmE1EiEvPT3_S3_: ; @_Z16warp_load_kernelILj256ELj8ELj64ELN6hipcub17WarpLoadAlgorithmE1EiEvPT3_S3_
; %bb.0:
	s_load_dwordx4 s[0:3], s[4:5], 0x0
	v_lshlrev_b32_e32 v1, 3, v0
	s_lshl_b32 s4, s6, 11
	v_mov_b32_e32 v2, 0
	v_mbcnt_lo_u32_b32 v5, -1, 0
	v_and_or_b32 v1, 0x600, v1, s4
	v_mov_b32_e32 v6, v2
	v_mov_b32_e32 v8, v2
	;; [unrolled: 1-line block ×3, first 2 shown]
	v_lshlrev_b64 v[3:4], 2, v[1:2]
	v_lshlrev_b32_e32 v1, 2, v5
	v_mov_b32_e32 v12, v2
	s_waitcnt lgkmcnt(0)
	v_add_co_u32 v3, vcc_lo, s0, v3
	v_add_co_ci_u32_e64 v4, null, s1, v4, vcc_lo
	v_add_co_u32 v3, vcc_lo, v3, v1
	v_add_co_ci_u32_e64 v4, null, 0, v4, vcc_lo
	v_or_b32_e32 v1, s4, v0
	s_clause 0x7
	global_load_dword v15, v[3:4], off
	global_load_dword v16, v[3:4], off offset:256
	global_load_dword v17, v[3:4], off offset:512
	;; [unrolled: 1-line block ×7, first 2 shown]
	v_mov_b32_e32 v4, v2
	v_or_b32_e32 v3, 0x200, v1
	v_or_b32_e32 v5, 0x300, v1
	v_lshlrev_b64 v[13:14], 2, v[1:2]
	v_or_b32_e32 v7, 0x400, v1
	v_or_b32_e32 v9, 0x500, v1
	v_lshlrev_b64 v[3:4], 2, v[3:4]
	;; [unrolled: 3-line block ×3, first 2 shown]
	v_lshlrev_b64 v[7:8], 2, v[7:8]
	v_add_co_u32 v13, vcc_lo, s2, v13
	v_lshlrev_b64 v[9:10], 2, v[9:10]
	v_lshlrev_b64 v[0:1], 2, v[1:2]
	v_add_co_ci_u32_e64 v14, null, s3, v14, vcc_lo
	v_add_co_u32 v2, vcc_lo, s2, v3
	v_lshlrev_b64 v[11:12], 2, v[11:12]
	v_add_co_ci_u32_e64 v3, null, s3, v4, vcc_lo
	v_add_co_u32 v4, vcc_lo, s2, v5
	v_add_co_ci_u32_e64 v5, null, s3, v6, vcc_lo
	v_add_co_u32 v6, vcc_lo, s2, v7
	;; [unrolled: 2-line block ×5, first 2 shown]
	v_add_co_ci_u32_e64 v1, null, s3, v1, vcc_lo
	s_waitcnt vmcnt(7)
	global_store_dword v[13:14], v15, off
	s_waitcnt vmcnt(6)
	global_store_dword v[13:14], v16, off offset:1024
	s_waitcnt vmcnt(5)
	global_store_dword v[2:3], v17, off
	s_waitcnt vmcnt(4)
	global_store_dword v[4:5], v18, off
	;; [unrolled: 2-line block ×6, first 2 shown]
	s_endpgm
	.section	.rodata,"a",@progbits
	.p2align	6, 0x0
	.amdhsa_kernel _Z16warp_load_kernelILj256ELj8ELj64ELN6hipcub17WarpLoadAlgorithmE1EiEvPT3_S3_
		.amdhsa_group_segment_fixed_size 0
		.amdhsa_private_segment_fixed_size 0
		.amdhsa_kernarg_size 16
		.amdhsa_user_sgpr_count 6
		.amdhsa_user_sgpr_private_segment_buffer 1
		.amdhsa_user_sgpr_dispatch_ptr 0
		.amdhsa_user_sgpr_queue_ptr 0
		.amdhsa_user_sgpr_kernarg_segment_ptr 1
		.amdhsa_user_sgpr_dispatch_id 0
		.amdhsa_user_sgpr_flat_scratch_init 0
		.amdhsa_user_sgpr_private_segment_size 0
		.amdhsa_wavefront_size32 1
		.amdhsa_uses_dynamic_stack 0
		.amdhsa_system_sgpr_private_segment_wavefront_offset 0
		.amdhsa_system_sgpr_workgroup_id_x 1
		.amdhsa_system_sgpr_workgroup_id_y 0
		.amdhsa_system_sgpr_workgroup_id_z 0
		.amdhsa_system_sgpr_workgroup_info 0
		.amdhsa_system_vgpr_workitem_id 0
		.amdhsa_next_free_vgpr 23
		.amdhsa_next_free_sgpr 7
		.amdhsa_reserve_vcc 1
		.amdhsa_reserve_flat_scratch 0
		.amdhsa_float_round_mode_32 0
		.amdhsa_float_round_mode_16_64 0
		.amdhsa_float_denorm_mode_32 3
		.amdhsa_float_denorm_mode_16_64 3
		.amdhsa_dx10_clamp 1
		.amdhsa_ieee_mode 1
		.amdhsa_fp16_overflow 0
		.amdhsa_workgroup_processor_mode 1
		.amdhsa_memory_ordered 1
		.amdhsa_forward_progress 1
		.amdhsa_shared_vgpr_count 0
		.amdhsa_exception_fp_ieee_invalid_op 0
		.amdhsa_exception_fp_denorm_src 0
		.amdhsa_exception_fp_ieee_div_zero 0
		.amdhsa_exception_fp_ieee_overflow 0
		.amdhsa_exception_fp_ieee_underflow 0
		.amdhsa_exception_fp_ieee_inexact 0
		.amdhsa_exception_int_div_zero 0
	.end_amdhsa_kernel
	.section	.text._Z16warp_load_kernelILj256ELj8ELj64ELN6hipcub17WarpLoadAlgorithmE1EiEvPT3_S3_,"axG",@progbits,_Z16warp_load_kernelILj256ELj8ELj64ELN6hipcub17WarpLoadAlgorithmE1EiEvPT3_S3_,comdat
.Lfunc_end42:
	.size	_Z16warp_load_kernelILj256ELj8ELj64ELN6hipcub17WarpLoadAlgorithmE1EiEvPT3_S3_, .Lfunc_end42-_Z16warp_load_kernelILj256ELj8ELj64ELN6hipcub17WarpLoadAlgorithmE1EiEvPT3_S3_
                                        ; -- End function
	.set _Z16warp_load_kernelILj256ELj8ELj64ELN6hipcub17WarpLoadAlgorithmE1EiEvPT3_S3_.num_vgpr, 23
	.set _Z16warp_load_kernelILj256ELj8ELj64ELN6hipcub17WarpLoadAlgorithmE1EiEvPT3_S3_.num_agpr, 0
	.set _Z16warp_load_kernelILj256ELj8ELj64ELN6hipcub17WarpLoadAlgorithmE1EiEvPT3_S3_.numbered_sgpr, 7
	.set _Z16warp_load_kernelILj256ELj8ELj64ELN6hipcub17WarpLoadAlgorithmE1EiEvPT3_S3_.num_named_barrier, 0
	.set _Z16warp_load_kernelILj256ELj8ELj64ELN6hipcub17WarpLoadAlgorithmE1EiEvPT3_S3_.private_seg_size, 0
	.set _Z16warp_load_kernelILj256ELj8ELj64ELN6hipcub17WarpLoadAlgorithmE1EiEvPT3_S3_.uses_vcc, 1
	.set _Z16warp_load_kernelILj256ELj8ELj64ELN6hipcub17WarpLoadAlgorithmE1EiEvPT3_S3_.uses_flat_scratch, 0
	.set _Z16warp_load_kernelILj256ELj8ELj64ELN6hipcub17WarpLoadAlgorithmE1EiEvPT3_S3_.has_dyn_sized_stack, 0
	.set _Z16warp_load_kernelILj256ELj8ELj64ELN6hipcub17WarpLoadAlgorithmE1EiEvPT3_S3_.has_recursion, 0
	.set _Z16warp_load_kernelILj256ELj8ELj64ELN6hipcub17WarpLoadAlgorithmE1EiEvPT3_S3_.has_indirect_call, 0
	.section	.AMDGPU.csdata,"",@progbits
; Kernel info:
; codeLenInByte = 496
; TotalNumSgprs: 9
; NumVgprs: 23
; ScratchSize: 0
; MemoryBound: 0
; FloatMode: 240
; IeeeMode: 1
; LDSByteSize: 0 bytes/workgroup (compile time only)
; SGPRBlocks: 0
; VGPRBlocks: 2
; NumSGPRsForWavesPerEU: 9
; NumVGPRsForWavesPerEU: 23
; Occupancy: 16
; WaveLimiterHint : 1
; COMPUTE_PGM_RSRC2:SCRATCH_EN: 0
; COMPUTE_PGM_RSRC2:USER_SGPR: 6
; COMPUTE_PGM_RSRC2:TRAP_HANDLER: 0
; COMPUTE_PGM_RSRC2:TGID_X_EN: 1
; COMPUTE_PGM_RSRC2:TGID_Y_EN: 0
; COMPUTE_PGM_RSRC2:TGID_Z_EN: 0
; COMPUTE_PGM_RSRC2:TIDIG_COMP_CNT: 0
	.section	.text._Z16warp_load_kernelILj256ELj8ELj64ELN6hipcub17WarpLoadAlgorithmE2EiEvPT3_S3_,"axG",@progbits,_Z16warp_load_kernelILj256ELj8ELj64ELN6hipcub17WarpLoadAlgorithmE2EiEvPT3_S3_,comdat
	.protected	_Z16warp_load_kernelILj256ELj8ELj64ELN6hipcub17WarpLoadAlgorithmE2EiEvPT3_S3_ ; -- Begin function _Z16warp_load_kernelILj256ELj8ELj64ELN6hipcub17WarpLoadAlgorithmE2EiEvPT3_S3_
	.globl	_Z16warp_load_kernelILj256ELj8ELj64ELN6hipcub17WarpLoadAlgorithmE2EiEvPT3_S3_
	.p2align	8
	.type	_Z16warp_load_kernelILj256ELj8ELj64ELN6hipcub17WarpLoadAlgorithmE2EiEvPT3_S3_,@function
_Z16warp_load_kernelILj256ELj8ELj64ELN6hipcub17WarpLoadAlgorithmE2EiEvPT3_S3_: ; @_Z16warp_load_kernelILj256ELj8ELj64ELN6hipcub17WarpLoadAlgorithmE2EiEvPT3_S3_
; %bb.0:
	s_load_dwordx4 s[0:3], s[4:5], 0x0
	v_lshlrev_b32_e32 v1, 3, v0
	s_lshl_b32 s4, s6, 11
	v_mov_b32_e32 v10, 0
	v_mbcnt_lo_u32_b32 v3, -1, 0
	v_and_or_b32 v9, 0x600, v1, s4
	v_mov_b32_e32 v12, v10
	v_lshlrev_b32_e32 v3, 5, v3
	v_mov_b32_e32 v14, v10
	v_lshlrev_b64 v[1:2], 2, v[9:10]
	v_or_b32_e32 v9, s4, v0
	v_mov_b32_e32 v16, v10
	v_mov_b32_e32 v18, v10
	;; [unrolled: 1-line block ×3, first 2 shown]
	v_or_b32_e32 v11, 0x200, v9
	v_or_b32_e32 v13, 0x300, v9
	v_lshlrev_b64 v[21:22], 2, v[9:10]
	s_waitcnt lgkmcnt(0)
	v_add_co_u32 v1, vcc_lo, s0, v1
	v_add_co_ci_u32_e64 v2, null, s1, v2, vcc_lo
	v_or_b32_e32 v15, 0x400, v9
	v_add_co_u32 v5, vcc_lo, v1, v3
	v_add_co_ci_u32_e64 v6, null, 0, v2, vcc_lo
	v_lshlrev_b64 v[11:12], 2, v[11:12]
	v_or_b32_e32 v17, 0x500, v9
	v_lshlrev_b64 v[13:14], 2, v[13:14]
	s_clause 0x1
	global_load_dwordx4 v[1:4], v[5:6], off
	global_load_dwordx4 v[5:8], v[5:6], off offset:16
	v_or_b32_e32 v19, 0x600, v9
	v_lshlrev_b64 v[15:16], 2, v[15:16]
	v_add_co_u32 v21, vcc_lo, s2, v21
	v_or_b32_e32 v9, 0x700, v9
	v_lshlrev_b64 v[17:18], 2, v[17:18]
	v_add_co_ci_u32_e64 v22, null, s3, v22, vcc_lo
	v_add_co_u32 v11, vcc_lo, s2, v11
	v_lshlrev_b64 v[19:20], 2, v[19:20]
	v_add_co_ci_u32_e64 v12, null, s3, v12, vcc_lo
	v_add_co_u32 v13, vcc_lo, s2, v13
	;; [unrolled: 3-line block ×3, first 2 shown]
	v_add_co_ci_u32_e64 v16, null, s3, v16, vcc_lo
	v_add_co_u32 v17, vcc_lo, s2, v17
	v_add_co_ci_u32_e64 v18, null, s3, v18, vcc_lo
	v_add_co_u32 v19, vcc_lo, s2, v19
	;; [unrolled: 2-line block ×3, first 2 shown]
	v_add_co_ci_u32_e64 v10, null, s3, v10, vcc_lo
	s_waitcnt vmcnt(1)
	global_store_dword v[21:22], v1, off
	global_store_dword v[21:22], v2, off offset:1024
	global_store_dword v[11:12], v3, off
	global_store_dword v[13:14], v4, off
	s_waitcnt vmcnt(0)
	global_store_dword v[15:16], v5, off
	global_store_dword v[17:18], v6, off
	;; [unrolled: 1-line block ×4, first 2 shown]
	s_endpgm
	.section	.rodata,"a",@progbits
	.p2align	6, 0x0
	.amdhsa_kernel _Z16warp_load_kernelILj256ELj8ELj64ELN6hipcub17WarpLoadAlgorithmE2EiEvPT3_S3_
		.amdhsa_group_segment_fixed_size 0
		.amdhsa_private_segment_fixed_size 0
		.amdhsa_kernarg_size 16
		.amdhsa_user_sgpr_count 6
		.amdhsa_user_sgpr_private_segment_buffer 1
		.amdhsa_user_sgpr_dispatch_ptr 0
		.amdhsa_user_sgpr_queue_ptr 0
		.amdhsa_user_sgpr_kernarg_segment_ptr 1
		.amdhsa_user_sgpr_dispatch_id 0
		.amdhsa_user_sgpr_flat_scratch_init 0
		.amdhsa_user_sgpr_private_segment_size 0
		.amdhsa_wavefront_size32 1
		.amdhsa_uses_dynamic_stack 0
		.amdhsa_system_sgpr_private_segment_wavefront_offset 0
		.amdhsa_system_sgpr_workgroup_id_x 1
		.amdhsa_system_sgpr_workgroup_id_y 0
		.amdhsa_system_sgpr_workgroup_id_z 0
		.amdhsa_system_sgpr_workgroup_info 0
		.amdhsa_system_vgpr_workitem_id 0
		.amdhsa_next_free_vgpr 23
		.amdhsa_next_free_sgpr 7
		.amdhsa_reserve_vcc 1
		.amdhsa_reserve_flat_scratch 0
		.amdhsa_float_round_mode_32 0
		.amdhsa_float_round_mode_16_64 0
		.amdhsa_float_denorm_mode_32 3
		.amdhsa_float_denorm_mode_16_64 3
		.amdhsa_dx10_clamp 1
		.amdhsa_ieee_mode 1
		.amdhsa_fp16_overflow 0
		.amdhsa_workgroup_processor_mode 1
		.amdhsa_memory_ordered 1
		.amdhsa_forward_progress 1
		.amdhsa_shared_vgpr_count 0
		.amdhsa_exception_fp_ieee_invalid_op 0
		.amdhsa_exception_fp_denorm_src 0
		.amdhsa_exception_fp_ieee_div_zero 0
		.amdhsa_exception_fp_ieee_overflow 0
		.amdhsa_exception_fp_ieee_underflow 0
		.amdhsa_exception_fp_ieee_inexact 0
		.amdhsa_exception_int_div_zero 0
	.end_amdhsa_kernel
	.section	.text._Z16warp_load_kernelILj256ELj8ELj64ELN6hipcub17WarpLoadAlgorithmE2EiEvPT3_S3_,"axG",@progbits,_Z16warp_load_kernelILj256ELj8ELj64ELN6hipcub17WarpLoadAlgorithmE2EiEvPT3_S3_,comdat
.Lfunc_end43:
	.size	_Z16warp_load_kernelILj256ELj8ELj64ELN6hipcub17WarpLoadAlgorithmE2EiEvPT3_S3_, .Lfunc_end43-_Z16warp_load_kernelILj256ELj8ELj64ELN6hipcub17WarpLoadAlgorithmE2EiEvPT3_S3_
                                        ; -- End function
	.set _Z16warp_load_kernelILj256ELj8ELj64ELN6hipcub17WarpLoadAlgorithmE2EiEvPT3_S3_.num_vgpr, 23
	.set _Z16warp_load_kernelILj256ELj8ELj64ELN6hipcub17WarpLoadAlgorithmE2EiEvPT3_S3_.num_agpr, 0
	.set _Z16warp_load_kernelILj256ELj8ELj64ELN6hipcub17WarpLoadAlgorithmE2EiEvPT3_S3_.numbered_sgpr, 7
	.set _Z16warp_load_kernelILj256ELj8ELj64ELN6hipcub17WarpLoadAlgorithmE2EiEvPT3_S3_.num_named_barrier, 0
	.set _Z16warp_load_kernelILj256ELj8ELj64ELN6hipcub17WarpLoadAlgorithmE2EiEvPT3_S3_.private_seg_size, 0
	.set _Z16warp_load_kernelILj256ELj8ELj64ELN6hipcub17WarpLoadAlgorithmE2EiEvPT3_S3_.uses_vcc, 1
	.set _Z16warp_load_kernelILj256ELj8ELj64ELN6hipcub17WarpLoadAlgorithmE2EiEvPT3_S3_.uses_flat_scratch, 0
	.set _Z16warp_load_kernelILj256ELj8ELj64ELN6hipcub17WarpLoadAlgorithmE2EiEvPT3_S3_.has_dyn_sized_stack, 0
	.set _Z16warp_load_kernelILj256ELj8ELj64ELN6hipcub17WarpLoadAlgorithmE2EiEvPT3_S3_.has_recursion, 0
	.set _Z16warp_load_kernelILj256ELj8ELj64ELN6hipcub17WarpLoadAlgorithmE2EiEvPT3_S3_.has_indirect_call, 0
	.section	.AMDGPU.csdata,"",@progbits
; Kernel info:
; codeLenInByte = 424
; TotalNumSgprs: 9
; NumVgprs: 23
; ScratchSize: 0
; MemoryBound: 0
; FloatMode: 240
; IeeeMode: 1
; LDSByteSize: 0 bytes/workgroup (compile time only)
; SGPRBlocks: 0
; VGPRBlocks: 2
; NumSGPRsForWavesPerEU: 9
; NumVGPRsForWavesPerEU: 23
; Occupancy: 16
; WaveLimiterHint : 1
; COMPUTE_PGM_RSRC2:SCRATCH_EN: 0
; COMPUTE_PGM_RSRC2:USER_SGPR: 6
; COMPUTE_PGM_RSRC2:TRAP_HANDLER: 0
; COMPUTE_PGM_RSRC2:TGID_X_EN: 1
; COMPUTE_PGM_RSRC2:TGID_Y_EN: 0
; COMPUTE_PGM_RSRC2:TGID_Z_EN: 0
; COMPUTE_PGM_RSRC2:TIDIG_COMP_CNT: 0
	.section	.text._Z16warp_load_kernelILj256ELj8ELj64ELN6hipcub17WarpLoadAlgorithmE3EiEvPT3_S3_,"axG",@progbits,_Z16warp_load_kernelILj256ELj8ELj64ELN6hipcub17WarpLoadAlgorithmE3EiEvPT3_S3_,comdat
	.protected	_Z16warp_load_kernelILj256ELj8ELj64ELN6hipcub17WarpLoadAlgorithmE3EiEvPT3_S3_ ; -- Begin function _Z16warp_load_kernelILj256ELj8ELj64ELN6hipcub17WarpLoadAlgorithmE3EiEvPT3_S3_
	.globl	_Z16warp_load_kernelILj256ELj8ELj64ELN6hipcub17WarpLoadAlgorithmE3EiEvPT3_S3_
	.p2align	8
	.type	_Z16warp_load_kernelILj256ELj8ELj64ELN6hipcub17WarpLoadAlgorithmE3EiEvPT3_S3_,@function
_Z16warp_load_kernelILj256ELj8ELj64ELN6hipcub17WarpLoadAlgorithmE3EiEvPT3_S3_: ; @_Z16warp_load_kernelILj256ELj8ELj64ELN6hipcub17WarpLoadAlgorithmE3EiEvPT3_S3_
; %bb.0:
	s_load_dwordx4 s[0:3], s[4:5], 0x0
	v_lshrrev_b32_e32 v5, 6, v0
	s_lshl_b32 s4, s6, 11
	v_mov_b32_e32 v2, 0
	v_mbcnt_lo_u32_b32 v7, -1, 0
	v_lshl_or_b32 v1, v5, 9, s4
	v_mov_b32_e32 v6, v2
	v_lshlrev_b32_e32 v9, 2, v7
	v_mov_b32_e32 v8, v2
	v_lshlrev_b64 v[3:4], 2, v[1:2]
	v_mov_b32_e32 v10, v2
	v_mov_b32_e32 v12, v2
	s_waitcnt lgkmcnt(0)
	v_add_co_u32 v1, vcc_lo, s0, v3
	v_add_co_ci_u32_e64 v4, null, s1, v4, vcc_lo
	v_add_co_u32 v3, vcc_lo, v1, v9
	v_add_co_ci_u32_e64 v4, null, 0, v4, vcc_lo
	v_or_b32_e32 v1, s4, v0
	s_clause 0x7
	global_load_dword v21, v[3:4], off
	global_load_dword v22, v[3:4], off offset:256
	global_load_dword v23, v[3:4], off offset:512
	global_load_dword v24, v[3:4], off offset:768
	global_load_dword v25, v[3:4], off offset:1024
	global_load_dword v26, v[3:4], off offset:1280
	global_load_dword v27, v[3:4], off offset:1536
	global_load_dword v28, v[3:4], off offset:1792
	v_lshlrev_b32_e32 v3, 11, v5
	v_mov_b32_e32 v4, v2
	v_or_b32_e32 v5, 0x300, v1
	v_lshlrev_b64 v[13:14], 2, v[1:2]
	v_or_b32_e32 v11, 0x600, v1
	v_or_b32_e32 v0, v3, v9
	v_lshl_or_b32 v29, v7, 5, v3
	v_or_b32_e32 v3, 0x200, v1
	v_or_b32_e32 v7, 0x400, v1
	v_or_b32_e32 v9, 0x500, v1
	v_or_b32_e32 v1, 0x700, v1
	v_lshlrev_b64 v[5:6], 2, v[5:6]
	v_lshlrev_b64 v[3:4], 2, v[3:4]
	v_lshlrev_b64 v[15:16], 2, v[7:8]
	v_lshlrev_b64 v[8:9], 2, v[9:10]
	v_lshlrev_b64 v[10:11], 2, v[11:12]
	v_add_co_u32 v12, vcc_lo, s2, v13
	v_lshlrev_b64 v[17:18], 2, v[1:2]
	v_add_co_ci_u32_e64 v13, null, s3, v14, vcc_lo
	v_add_co_u32 v19, vcc_lo, s2, v3
	v_add_co_ci_u32_e64 v20, null, s3, v4, vcc_lo
	s_waitcnt vmcnt(6)
	ds_write2st64_b32 v0, v21, v22 offset1:1
	s_waitcnt vmcnt(4)
	ds_write2st64_b32 v0, v23, v24 offset0:2 offset1:3
	s_waitcnt vmcnt(2)
	ds_write2st64_b32 v0, v25, v26 offset0:4 offset1:5
	;; [unrolled: 2-line block ×3, first 2 shown]
	; wave barrier
	ds_read_b128 v[0:3], v29
	v_add_co_u32 v21, vcc_lo, s2, v5
	v_add_co_ci_u32_e64 v22, null, s3, v6, vcc_lo
	ds_read_b128 v[4:7], v29 offset:16
	v_add_co_u32 v14, vcc_lo, s2, v15
	v_add_co_ci_u32_e64 v15, null, s3, v16, vcc_lo
	v_add_co_u32 v8, vcc_lo, s2, v8
	v_add_co_ci_u32_e64 v9, null, s3, v9, vcc_lo
	;; [unrolled: 2-line block ×4, first 2 shown]
	s_waitcnt lgkmcnt(1)
	global_store_dword v[12:13], v0, off
	global_store_dword v[12:13], v1, off offset:1024
	global_store_dword v[19:20], v2, off
	global_store_dword v[21:22], v3, off
	s_waitcnt lgkmcnt(0)
	global_store_dword v[14:15], v4, off
	global_store_dword v[8:9], v5, off
	;; [unrolled: 1-line block ×4, first 2 shown]
	s_endpgm
	.section	.rodata,"a",@progbits
	.p2align	6, 0x0
	.amdhsa_kernel _Z16warp_load_kernelILj256ELj8ELj64ELN6hipcub17WarpLoadAlgorithmE3EiEvPT3_S3_
		.amdhsa_group_segment_fixed_size 8192
		.amdhsa_private_segment_fixed_size 0
		.amdhsa_kernarg_size 16
		.amdhsa_user_sgpr_count 6
		.amdhsa_user_sgpr_private_segment_buffer 1
		.amdhsa_user_sgpr_dispatch_ptr 0
		.amdhsa_user_sgpr_queue_ptr 0
		.amdhsa_user_sgpr_kernarg_segment_ptr 1
		.amdhsa_user_sgpr_dispatch_id 0
		.amdhsa_user_sgpr_flat_scratch_init 0
		.amdhsa_user_sgpr_private_segment_size 0
		.amdhsa_wavefront_size32 1
		.amdhsa_uses_dynamic_stack 0
		.amdhsa_system_sgpr_private_segment_wavefront_offset 0
		.amdhsa_system_sgpr_workgroup_id_x 1
		.amdhsa_system_sgpr_workgroup_id_y 0
		.amdhsa_system_sgpr_workgroup_id_z 0
		.amdhsa_system_sgpr_workgroup_info 0
		.amdhsa_system_vgpr_workitem_id 0
		.amdhsa_next_free_vgpr 30
		.amdhsa_next_free_sgpr 7
		.amdhsa_reserve_vcc 1
		.amdhsa_reserve_flat_scratch 0
		.amdhsa_float_round_mode_32 0
		.amdhsa_float_round_mode_16_64 0
		.amdhsa_float_denorm_mode_32 3
		.amdhsa_float_denorm_mode_16_64 3
		.amdhsa_dx10_clamp 1
		.amdhsa_ieee_mode 1
		.amdhsa_fp16_overflow 0
		.amdhsa_workgroup_processor_mode 1
		.amdhsa_memory_ordered 1
		.amdhsa_forward_progress 1
		.amdhsa_shared_vgpr_count 0
		.amdhsa_exception_fp_ieee_invalid_op 0
		.amdhsa_exception_fp_denorm_src 0
		.amdhsa_exception_fp_ieee_div_zero 0
		.amdhsa_exception_fp_ieee_overflow 0
		.amdhsa_exception_fp_ieee_underflow 0
		.amdhsa_exception_fp_ieee_inexact 0
		.amdhsa_exception_int_div_zero 0
	.end_amdhsa_kernel
	.section	.text._Z16warp_load_kernelILj256ELj8ELj64ELN6hipcub17WarpLoadAlgorithmE3EiEvPT3_S3_,"axG",@progbits,_Z16warp_load_kernelILj256ELj8ELj64ELN6hipcub17WarpLoadAlgorithmE3EiEvPT3_S3_,comdat
.Lfunc_end44:
	.size	_Z16warp_load_kernelILj256ELj8ELj64ELN6hipcub17WarpLoadAlgorithmE3EiEvPT3_S3_, .Lfunc_end44-_Z16warp_load_kernelILj256ELj8ELj64ELN6hipcub17WarpLoadAlgorithmE3EiEvPT3_S3_
                                        ; -- End function
	.set _Z16warp_load_kernelILj256ELj8ELj64ELN6hipcub17WarpLoadAlgorithmE3EiEvPT3_S3_.num_vgpr, 30
	.set _Z16warp_load_kernelILj256ELj8ELj64ELN6hipcub17WarpLoadAlgorithmE3EiEvPT3_S3_.num_agpr, 0
	.set _Z16warp_load_kernelILj256ELj8ELj64ELN6hipcub17WarpLoadAlgorithmE3EiEvPT3_S3_.numbered_sgpr, 7
	.set _Z16warp_load_kernelILj256ELj8ELj64ELN6hipcub17WarpLoadAlgorithmE3EiEvPT3_S3_.num_named_barrier, 0
	.set _Z16warp_load_kernelILj256ELj8ELj64ELN6hipcub17WarpLoadAlgorithmE3EiEvPT3_S3_.private_seg_size, 0
	.set _Z16warp_load_kernelILj256ELj8ELj64ELN6hipcub17WarpLoadAlgorithmE3EiEvPT3_S3_.uses_vcc, 1
	.set _Z16warp_load_kernelILj256ELj8ELj64ELN6hipcub17WarpLoadAlgorithmE3EiEvPT3_S3_.uses_flat_scratch, 0
	.set _Z16warp_load_kernelILj256ELj8ELj64ELN6hipcub17WarpLoadAlgorithmE3EiEvPT3_S3_.has_dyn_sized_stack, 0
	.set _Z16warp_load_kernelILj256ELj8ELj64ELN6hipcub17WarpLoadAlgorithmE3EiEvPT3_S3_.has_recursion, 0
	.set _Z16warp_load_kernelILj256ELj8ELj64ELN6hipcub17WarpLoadAlgorithmE3EiEvPT3_S3_.has_indirect_call, 0
	.section	.AMDGPU.csdata,"",@progbits
; Kernel info:
; codeLenInByte = 548
; TotalNumSgprs: 9
; NumVgprs: 30
; ScratchSize: 0
; MemoryBound: 0
; FloatMode: 240
; IeeeMode: 1
; LDSByteSize: 8192 bytes/workgroup (compile time only)
; SGPRBlocks: 0
; VGPRBlocks: 3
; NumSGPRsForWavesPerEU: 9
; NumVGPRsForWavesPerEU: 30
; Occupancy: 16
; WaveLimiterHint : 1
; COMPUTE_PGM_RSRC2:SCRATCH_EN: 0
; COMPUTE_PGM_RSRC2:USER_SGPR: 6
; COMPUTE_PGM_RSRC2:TRAP_HANDLER: 0
; COMPUTE_PGM_RSRC2:TGID_X_EN: 1
; COMPUTE_PGM_RSRC2:TGID_Y_EN: 0
; COMPUTE_PGM_RSRC2:TGID_Z_EN: 0
; COMPUTE_PGM_RSRC2:TIDIG_COMP_CNT: 0
	.section	.text._Z16warp_load_kernelILj256ELj16ELj64ELN6hipcub17WarpLoadAlgorithmE0EiEvPT3_S3_,"axG",@progbits,_Z16warp_load_kernelILj256ELj16ELj64ELN6hipcub17WarpLoadAlgorithmE0EiEvPT3_S3_,comdat
	.protected	_Z16warp_load_kernelILj256ELj16ELj64ELN6hipcub17WarpLoadAlgorithmE0EiEvPT3_S3_ ; -- Begin function _Z16warp_load_kernelILj256ELj16ELj64ELN6hipcub17WarpLoadAlgorithmE0EiEvPT3_S3_
	.globl	_Z16warp_load_kernelILj256ELj16ELj64ELN6hipcub17WarpLoadAlgorithmE0EiEvPT3_S3_
	.p2align	8
	.type	_Z16warp_load_kernelILj256ELj16ELj64ELN6hipcub17WarpLoadAlgorithmE0EiEvPT3_S3_,@function
_Z16warp_load_kernelILj256ELj16ELj64ELN6hipcub17WarpLoadAlgorithmE0EiEvPT3_S3_: ; @_Z16warp_load_kernelILj256ELj16ELj64ELN6hipcub17WarpLoadAlgorithmE0EiEvPT3_S3_
; %bb.0:
	s_load_dwordx4 s[0:3], s[4:5], 0x0
	v_lshlrev_b32_e32 v1, 4, v0
	s_lshl_b32 s4, s6, 12
	v_mov_b32_e32 v18, 0
	v_mbcnt_lo_u32_b32 v3, -1, 0
	v_and_or_b32 v17, 0xc00, v1, s4
	v_mov_b32_e32 v20, v18
	v_lshlrev_b32_e32 v3, 6, v3
	v_mov_b32_e32 v22, v18
	v_lshlrev_b64 v[1:2], 2, v[17:18]
	v_or_b32_e32 v17, s4, v0
	v_mov_b32_e32 v24, v18
	v_mov_b32_e32 v26, v18
	;; [unrolled: 1-line block ×4, first 2 shown]
	v_or_b32_e32 v19, 0x200, v17
	v_or_b32_e32 v21, 0x300, v17
	v_lshlrev_b64 v[45:46], 2, v[17:18]
	s_waitcnt lgkmcnt(0)
	v_add_co_u32 v1, vcc_lo, s0, v1
	v_add_co_ci_u32_e64 v2, null, s1, v2, vcc_lo
	v_or_b32_e32 v23, 0x400, v17
	v_add_co_u32 v13, vcc_lo, v1, v3
	v_add_co_ci_u32_e64 v14, null, 0, v2, vcc_lo
	v_lshlrev_b64 v[19:20], 2, v[19:20]
	v_or_b32_e32 v25, 0x500, v17
	v_lshlrev_b64 v[21:22], 2, v[21:22]
	s_clause 0x3
	global_load_dwordx4 v[1:4], v[13:14], off
	global_load_dwordx4 v[5:8], v[13:14], off offset:16
	global_load_dwordx4 v[9:12], v[13:14], off offset:32
	;; [unrolled: 1-line block ×3, first 2 shown]
	v_or_b32_e32 v27, 0x600, v17
	v_lshlrev_b64 v[23:24], 2, v[23:24]
	v_add_co_u32 v45, vcc_lo, s2, v45
	v_or_b32_e32 v29, 0x700, v17
	v_lshlrev_b64 v[25:26], 2, v[25:26]
	v_add_co_ci_u32_e64 v46, null, s3, v46, vcc_lo
	v_add_co_u32 v19, vcc_lo, s2, v19
	v_mov_b32_e32 v32, v18
	v_or_b32_e32 v31, 0x800, v17
	v_lshlrev_b64 v[27:28], 2, v[27:28]
	v_add_co_ci_u32_e64 v20, null, s3, v20, vcc_lo
	v_add_co_u32 v21, vcc_lo, s2, v21
	v_mov_b32_e32 v34, v18
	;; [unrolled: 5-line block ×7, first 2 shown]
	v_or_b32_e32 v43, 0xe00, v17
	v_lshlrev_b64 v[39:40], 2, v[39:40]
	v_add_co_ci_u32_e64 v32, null, s3, v32, vcc_lo
	v_add_co_u32 v33, vcc_lo, s2, v33
	v_or_b32_e32 v17, 0xf00, v17
	v_lshlrev_b64 v[41:42], 2, v[41:42]
	v_add_co_ci_u32_e64 v34, null, s3, v34, vcc_lo
	v_add_co_u32 v35, vcc_lo, s2, v35
	v_lshlrev_b64 v[43:44], 2, v[43:44]
	v_add_co_ci_u32_e64 v36, null, s3, v36, vcc_lo
	v_add_co_u32 v37, vcc_lo, s2, v37
	;; [unrolled: 3-line block ×3, first 2 shown]
	v_add_co_ci_u32_e64 v40, null, s3, v40, vcc_lo
	v_add_co_u32 v41, vcc_lo, s2, v41
	v_add_co_ci_u32_e64 v42, null, s3, v42, vcc_lo
	v_add_co_u32 v43, vcc_lo, s2, v43
	;; [unrolled: 2-line block ×3, first 2 shown]
	v_add_co_ci_u32_e64 v18, null, s3, v18, vcc_lo
	s_waitcnt vmcnt(3)
	global_store_dword v[45:46], v1, off
	global_store_dword v[45:46], v2, off offset:1024
	global_store_dword v[19:20], v3, off
	global_store_dword v[21:22], v4, off
	s_waitcnt vmcnt(2)
	global_store_dword v[23:24], v5, off
	global_store_dword v[25:26], v6, off
	global_store_dword v[27:28], v7, off
	global_store_dword v[29:30], v8, off
	s_waitcnt vmcnt(1)
	global_store_dword v[31:32], v9, off
	global_store_dword v[33:34], v10, off
	;; [unrolled: 5-line block ×3, first 2 shown]
	global_store_dword v[43:44], v15, off
	global_store_dword v[17:18], v16, off
	s_endpgm
	.section	.rodata,"a",@progbits
	.p2align	6, 0x0
	.amdhsa_kernel _Z16warp_load_kernelILj256ELj16ELj64ELN6hipcub17WarpLoadAlgorithmE0EiEvPT3_S3_
		.amdhsa_group_segment_fixed_size 0
		.amdhsa_private_segment_fixed_size 0
		.amdhsa_kernarg_size 16
		.amdhsa_user_sgpr_count 6
		.amdhsa_user_sgpr_private_segment_buffer 1
		.amdhsa_user_sgpr_dispatch_ptr 0
		.amdhsa_user_sgpr_queue_ptr 0
		.amdhsa_user_sgpr_kernarg_segment_ptr 1
		.amdhsa_user_sgpr_dispatch_id 0
		.amdhsa_user_sgpr_flat_scratch_init 0
		.amdhsa_user_sgpr_private_segment_size 0
		.amdhsa_wavefront_size32 1
		.amdhsa_uses_dynamic_stack 0
		.amdhsa_system_sgpr_private_segment_wavefront_offset 0
		.amdhsa_system_sgpr_workgroup_id_x 1
		.amdhsa_system_sgpr_workgroup_id_y 0
		.amdhsa_system_sgpr_workgroup_id_z 0
		.amdhsa_system_sgpr_workgroup_info 0
		.amdhsa_system_vgpr_workitem_id 0
		.amdhsa_next_free_vgpr 47
		.amdhsa_next_free_sgpr 7
		.amdhsa_reserve_vcc 1
		.amdhsa_reserve_flat_scratch 0
		.amdhsa_float_round_mode_32 0
		.amdhsa_float_round_mode_16_64 0
		.amdhsa_float_denorm_mode_32 3
		.amdhsa_float_denorm_mode_16_64 3
		.amdhsa_dx10_clamp 1
		.amdhsa_ieee_mode 1
		.amdhsa_fp16_overflow 0
		.amdhsa_workgroup_processor_mode 1
		.amdhsa_memory_ordered 1
		.amdhsa_forward_progress 1
		.amdhsa_shared_vgpr_count 0
		.amdhsa_exception_fp_ieee_invalid_op 0
		.amdhsa_exception_fp_denorm_src 0
		.amdhsa_exception_fp_ieee_div_zero 0
		.amdhsa_exception_fp_ieee_overflow 0
		.amdhsa_exception_fp_ieee_underflow 0
		.amdhsa_exception_fp_ieee_inexact 0
		.amdhsa_exception_int_div_zero 0
	.end_amdhsa_kernel
	.section	.text._Z16warp_load_kernelILj256ELj16ELj64ELN6hipcub17WarpLoadAlgorithmE0EiEvPT3_S3_,"axG",@progbits,_Z16warp_load_kernelILj256ELj16ELj64ELN6hipcub17WarpLoadAlgorithmE0EiEvPT3_S3_,comdat
.Lfunc_end45:
	.size	_Z16warp_load_kernelILj256ELj16ELj64ELN6hipcub17WarpLoadAlgorithmE0EiEvPT3_S3_, .Lfunc_end45-_Z16warp_load_kernelILj256ELj16ELj64ELN6hipcub17WarpLoadAlgorithmE0EiEvPT3_S3_
                                        ; -- End function
	.set _Z16warp_load_kernelILj256ELj16ELj64ELN6hipcub17WarpLoadAlgorithmE0EiEvPT3_S3_.num_vgpr, 47
	.set _Z16warp_load_kernelILj256ELj16ELj64ELN6hipcub17WarpLoadAlgorithmE0EiEvPT3_S3_.num_agpr, 0
	.set _Z16warp_load_kernelILj256ELj16ELj64ELN6hipcub17WarpLoadAlgorithmE0EiEvPT3_S3_.numbered_sgpr, 7
	.set _Z16warp_load_kernelILj256ELj16ELj64ELN6hipcub17WarpLoadAlgorithmE0EiEvPT3_S3_.num_named_barrier, 0
	.set _Z16warp_load_kernelILj256ELj16ELj64ELN6hipcub17WarpLoadAlgorithmE0EiEvPT3_S3_.private_seg_size, 0
	.set _Z16warp_load_kernelILj256ELj16ELj64ELN6hipcub17WarpLoadAlgorithmE0EiEvPT3_S3_.uses_vcc, 1
	.set _Z16warp_load_kernelILj256ELj16ELj64ELN6hipcub17WarpLoadAlgorithmE0EiEvPT3_S3_.uses_flat_scratch, 0
	.set _Z16warp_load_kernelILj256ELj16ELj64ELN6hipcub17WarpLoadAlgorithmE0EiEvPT3_S3_.has_dyn_sized_stack, 0
	.set _Z16warp_load_kernelILj256ELj16ELj64ELN6hipcub17WarpLoadAlgorithmE0EiEvPT3_S3_.has_recursion, 0
	.set _Z16warp_load_kernelILj256ELj16ELj64ELN6hipcub17WarpLoadAlgorithmE0EiEvPT3_S3_.has_indirect_call, 0
	.section	.AMDGPU.csdata,"",@progbits
; Kernel info:
; codeLenInByte = 800
; TotalNumSgprs: 9
; NumVgprs: 47
; ScratchSize: 0
; MemoryBound: 0
; FloatMode: 240
; IeeeMode: 1
; LDSByteSize: 0 bytes/workgroup (compile time only)
; SGPRBlocks: 0
; VGPRBlocks: 5
; NumSGPRsForWavesPerEU: 9
; NumVGPRsForWavesPerEU: 47
; Occupancy: 16
; WaveLimiterHint : 1
; COMPUTE_PGM_RSRC2:SCRATCH_EN: 0
; COMPUTE_PGM_RSRC2:USER_SGPR: 6
; COMPUTE_PGM_RSRC2:TRAP_HANDLER: 0
; COMPUTE_PGM_RSRC2:TGID_X_EN: 1
; COMPUTE_PGM_RSRC2:TGID_Y_EN: 0
; COMPUTE_PGM_RSRC2:TGID_Z_EN: 0
; COMPUTE_PGM_RSRC2:TIDIG_COMP_CNT: 0
	.section	.text._Z16warp_load_kernelILj256ELj16ELj64ELN6hipcub17WarpLoadAlgorithmE1EiEvPT3_S3_,"axG",@progbits,_Z16warp_load_kernelILj256ELj16ELj64ELN6hipcub17WarpLoadAlgorithmE1EiEvPT3_S3_,comdat
	.protected	_Z16warp_load_kernelILj256ELj16ELj64ELN6hipcub17WarpLoadAlgorithmE1EiEvPT3_S3_ ; -- Begin function _Z16warp_load_kernelILj256ELj16ELj64ELN6hipcub17WarpLoadAlgorithmE1EiEvPT3_S3_
	.globl	_Z16warp_load_kernelILj256ELj16ELj64ELN6hipcub17WarpLoadAlgorithmE1EiEvPT3_S3_
	.p2align	8
	.type	_Z16warp_load_kernelILj256ELj16ELj64ELN6hipcub17WarpLoadAlgorithmE1EiEvPT3_S3_,@function
_Z16warp_load_kernelILj256ELj16ELj64ELN6hipcub17WarpLoadAlgorithmE1EiEvPT3_S3_: ; @_Z16warp_load_kernelILj256ELj16ELj64ELN6hipcub17WarpLoadAlgorithmE1EiEvPT3_S3_
; %bb.0:
	s_load_dwordx4 s[0:3], s[4:5], 0x0
	v_lshlrev_b32_e32 v1, 4, v0
	s_lshl_b32 s4, s6, 12
	v_mov_b32_e32 v2, 0
	v_mbcnt_lo_u32_b32 v5, -1, 0
	v_and_or_b32 v1, 0xc00, v1, s4
	v_mov_b32_e32 v8, v2
	v_mov_b32_e32 v10, v2
	v_mov_b32_e32 v12, v2
	v_lshlrev_b64 v[3:4], 2, v[1:2]
	v_lshlrev_b32_e32 v1, 2, v5
	v_mov_b32_e32 v14, v2
	v_mov_b32_e32 v16, v2
	;; [unrolled: 1-line block ×7, first 2 shown]
	s_waitcnt lgkmcnt(0)
	v_add_co_u32 v3, vcc_lo, s0, v3
	v_add_co_ci_u32_e64 v4, null, s1, v4, vcc_lo
	v_mov_b32_e32 v28, v2
	v_add_co_u32 v3, vcc_lo, v3, v1
	v_add_co_ci_u32_e64 v4, null, 0, v4, vcc_lo
	v_or_b32_e32 v1, s4, v0
	v_add_co_u32 v5, vcc_lo, 0x800, v3
	v_add_co_ci_u32_e64 v6, null, 0, v4, vcc_lo
	s_clause 0xf
	global_load_dword v31, v[3:4], off
	global_load_dword v32, v[3:4], off offset:256
	global_load_dword v33, v[3:4], off offset:512
	;; [unrolled: 1-line block ×7, first 2 shown]
	global_load_dword v39, v[5:6], off
	global_load_dword v40, v[5:6], off offset:256
	global_load_dword v41, v[5:6], off offset:512
	;; [unrolled: 1-line block ×7, first 2 shown]
	v_mov_b32_e32 v4, v2
	v_or_b32_e32 v3, 0x200, v1
	v_mov_b32_e32 v6, v2
	v_or_b32_e32 v5, 0x300, v1
	v_lshlrev_b64 v[29:30], 2, v[1:2]
	v_or_b32_e32 v7, 0x400, v1
	v_lshlrev_b64 v[3:4], 2, v[3:4]
	v_or_b32_e32 v9, 0x500, v1
	v_or_b32_e32 v11, 0x600, v1
	;; [unrolled: 1-line block ×11, first 2 shown]
	v_lshlrev_b64 v[5:6], 2, v[5:6]
	v_lshlrev_b64 v[7:8], 2, v[7:8]
	v_add_co_u32 v29, vcc_lo, s2, v29
	v_lshlrev_b64 v[9:10], 2, v[9:10]
	v_lshlrev_b64 v[0:1], 2, v[1:2]
	v_add_co_ci_u32_e64 v30, null, s3, v30, vcc_lo
	v_add_co_u32 v2, vcc_lo, s2, v3
	v_lshlrev_b64 v[11:12], 2, v[11:12]
	v_add_co_ci_u32_e64 v3, null, s3, v4, vcc_lo
	v_add_co_u32 v4, vcc_lo, s2, v5
	;; [unrolled: 3-line block ×10, first 2 shown]
	v_add_co_ci_u32_e64 v21, null, s3, v22, vcc_lo
	v_add_co_u32 v22, vcc_lo, s2, v23
	v_add_co_ci_u32_e64 v23, null, s3, v24, vcc_lo
	v_add_co_u32 v24, vcc_lo, s2, v25
	;; [unrolled: 2-line block ×4, first 2 shown]
	v_add_co_ci_u32_e64 v1, null, s3, v1, vcc_lo
	s_waitcnt vmcnt(15)
	global_store_dword v[29:30], v31, off
	s_waitcnt vmcnt(14)
	global_store_dword v[29:30], v32, off offset:1024
	s_waitcnt vmcnt(13)
	global_store_dword v[2:3], v33, off
	s_waitcnt vmcnt(12)
	global_store_dword v[4:5], v34, off
	;; [unrolled: 2-line block ×14, first 2 shown]
	s_endpgm
	.section	.rodata,"a",@progbits
	.p2align	6, 0x0
	.amdhsa_kernel _Z16warp_load_kernelILj256ELj16ELj64ELN6hipcub17WarpLoadAlgorithmE1EiEvPT3_S3_
		.amdhsa_group_segment_fixed_size 0
		.amdhsa_private_segment_fixed_size 0
		.amdhsa_kernarg_size 16
		.amdhsa_user_sgpr_count 6
		.amdhsa_user_sgpr_private_segment_buffer 1
		.amdhsa_user_sgpr_dispatch_ptr 0
		.amdhsa_user_sgpr_queue_ptr 0
		.amdhsa_user_sgpr_kernarg_segment_ptr 1
		.amdhsa_user_sgpr_dispatch_id 0
		.amdhsa_user_sgpr_flat_scratch_init 0
		.amdhsa_user_sgpr_private_segment_size 0
		.amdhsa_wavefront_size32 1
		.amdhsa_uses_dynamic_stack 0
		.amdhsa_system_sgpr_private_segment_wavefront_offset 0
		.amdhsa_system_sgpr_workgroup_id_x 1
		.amdhsa_system_sgpr_workgroup_id_y 0
		.amdhsa_system_sgpr_workgroup_id_z 0
		.amdhsa_system_sgpr_workgroup_info 0
		.amdhsa_system_vgpr_workitem_id 0
		.amdhsa_next_free_vgpr 47
		.amdhsa_next_free_sgpr 7
		.amdhsa_reserve_vcc 1
		.amdhsa_reserve_flat_scratch 0
		.amdhsa_float_round_mode_32 0
		.amdhsa_float_round_mode_16_64 0
		.amdhsa_float_denorm_mode_32 3
		.amdhsa_float_denorm_mode_16_64 3
		.amdhsa_dx10_clamp 1
		.amdhsa_ieee_mode 1
		.amdhsa_fp16_overflow 0
		.amdhsa_workgroup_processor_mode 1
		.amdhsa_memory_ordered 1
		.amdhsa_forward_progress 1
		.amdhsa_shared_vgpr_count 0
		.amdhsa_exception_fp_ieee_invalid_op 0
		.amdhsa_exception_fp_denorm_src 0
		.amdhsa_exception_fp_ieee_div_zero 0
		.amdhsa_exception_fp_ieee_overflow 0
		.amdhsa_exception_fp_ieee_underflow 0
		.amdhsa_exception_fp_ieee_inexact 0
		.amdhsa_exception_int_div_zero 0
	.end_amdhsa_kernel
	.section	.text._Z16warp_load_kernelILj256ELj16ELj64ELN6hipcub17WarpLoadAlgorithmE1EiEvPT3_S3_,"axG",@progbits,_Z16warp_load_kernelILj256ELj16ELj64ELN6hipcub17WarpLoadAlgorithmE1EiEvPT3_S3_,comdat
.Lfunc_end46:
	.size	_Z16warp_load_kernelILj256ELj16ELj64ELN6hipcub17WarpLoadAlgorithmE1EiEvPT3_S3_, .Lfunc_end46-_Z16warp_load_kernelILj256ELj16ELj64ELN6hipcub17WarpLoadAlgorithmE1EiEvPT3_S3_
                                        ; -- End function
	.set _Z16warp_load_kernelILj256ELj16ELj64ELN6hipcub17WarpLoadAlgorithmE1EiEvPT3_S3_.num_vgpr, 47
	.set _Z16warp_load_kernelILj256ELj16ELj64ELN6hipcub17WarpLoadAlgorithmE1EiEvPT3_S3_.num_agpr, 0
	.set _Z16warp_load_kernelILj256ELj16ELj64ELN6hipcub17WarpLoadAlgorithmE1EiEvPT3_S3_.numbered_sgpr, 7
	.set _Z16warp_load_kernelILj256ELj16ELj64ELN6hipcub17WarpLoadAlgorithmE1EiEvPT3_S3_.num_named_barrier, 0
	.set _Z16warp_load_kernelILj256ELj16ELj64ELN6hipcub17WarpLoadAlgorithmE1EiEvPT3_S3_.private_seg_size, 0
	.set _Z16warp_load_kernelILj256ELj16ELj64ELN6hipcub17WarpLoadAlgorithmE1EiEvPT3_S3_.uses_vcc, 1
	.set _Z16warp_load_kernelILj256ELj16ELj64ELN6hipcub17WarpLoadAlgorithmE1EiEvPT3_S3_.uses_flat_scratch, 0
	.set _Z16warp_load_kernelILj256ELj16ELj64ELN6hipcub17WarpLoadAlgorithmE1EiEvPT3_S3_.has_dyn_sized_stack, 0
	.set _Z16warp_load_kernelILj256ELj16ELj64ELN6hipcub17WarpLoadAlgorithmE1EiEvPT3_S3_.has_recursion, 0
	.set _Z16warp_load_kernelILj256ELj16ELj64ELN6hipcub17WarpLoadAlgorithmE1EiEvPT3_S3_.has_indirect_call, 0
	.section	.AMDGPU.csdata,"",@progbits
; Kernel info:
; codeLenInByte = 964
; TotalNumSgprs: 9
; NumVgprs: 47
; ScratchSize: 0
; MemoryBound: 0
; FloatMode: 240
; IeeeMode: 1
; LDSByteSize: 0 bytes/workgroup (compile time only)
; SGPRBlocks: 0
; VGPRBlocks: 5
; NumSGPRsForWavesPerEU: 9
; NumVGPRsForWavesPerEU: 47
; Occupancy: 16
; WaveLimiterHint : 1
; COMPUTE_PGM_RSRC2:SCRATCH_EN: 0
; COMPUTE_PGM_RSRC2:USER_SGPR: 6
; COMPUTE_PGM_RSRC2:TRAP_HANDLER: 0
; COMPUTE_PGM_RSRC2:TGID_X_EN: 1
; COMPUTE_PGM_RSRC2:TGID_Y_EN: 0
; COMPUTE_PGM_RSRC2:TGID_Z_EN: 0
; COMPUTE_PGM_RSRC2:TIDIG_COMP_CNT: 0
	.section	.text._Z16warp_load_kernelILj256ELj16ELj64ELN6hipcub17WarpLoadAlgorithmE2EiEvPT3_S3_,"axG",@progbits,_Z16warp_load_kernelILj256ELj16ELj64ELN6hipcub17WarpLoadAlgorithmE2EiEvPT3_S3_,comdat
	.protected	_Z16warp_load_kernelILj256ELj16ELj64ELN6hipcub17WarpLoadAlgorithmE2EiEvPT3_S3_ ; -- Begin function _Z16warp_load_kernelILj256ELj16ELj64ELN6hipcub17WarpLoadAlgorithmE2EiEvPT3_S3_
	.globl	_Z16warp_load_kernelILj256ELj16ELj64ELN6hipcub17WarpLoadAlgorithmE2EiEvPT3_S3_
	.p2align	8
	.type	_Z16warp_load_kernelILj256ELj16ELj64ELN6hipcub17WarpLoadAlgorithmE2EiEvPT3_S3_,@function
_Z16warp_load_kernelILj256ELj16ELj64ELN6hipcub17WarpLoadAlgorithmE2EiEvPT3_S3_: ; @_Z16warp_load_kernelILj256ELj16ELj64ELN6hipcub17WarpLoadAlgorithmE2EiEvPT3_S3_
; %bb.0:
	s_load_dwordx4 s[0:3], s[4:5], 0x0
	v_lshlrev_b32_e32 v1, 4, v0
	s_lshl_b32 s4, s6, 12
	v_mov_b32_e32 v18, 0
	v_mbcnt_lo_u32_b32 v3, -1, 0
	v_and_or_b32 v17, 0xc00, v1, s4
	v_mov_b32_e32 v20, v18
	v_lshlrev_b32_e32 v3, 6, v3
	v_mov_b32_e32 v22, v18
	v_lshlrev_b64 v[1:2], 2, v[17:18]
	v_or_b32_e32 v17, s4, v0
	v_mov_b32_e32 v24, v18
	v_mov_b32_e32 v26, v18
	;; [unrolled: 1-line block ×4, first 2 shown]
	v_or_b32_e32 v19, 0x200, v17
	v_or_b32_e32 v21, 0x300, v17
	v_lshlrev_b64 v[45:46], 2, v[17:18]
	s_waitcnt lgkmcnt(0)
	v_add_co_u32 v1, vcc_lo, s0, v1
	v_add_co_ci_u32_e64 v2, null, s1, v2, vcc_lo
	v_or_b32_e32 v23, 0x400, v17
	v_add_co_u32 v13, vcc_lo, v1, v3
	v_add_co_ci_u32_e64 v14, null, 0, v2, vcc_lo
	v_lshlrev_b64 v[19:20], 2, v[19:20]
	v_or_b32_e32 v25, 0x500, v17
	v_lshlrev_b64 v[21:22], 2, v[21:22]
	s_clause 0x3
	global_load_dwordx4 v[1:4], v[13:14], off
	global_load_dwordx4 v[5:8], v[13:14], off offset:16
	global_load_dwordx4 v[9:12], v[13:14], off offset:32
	;; [unrolled: 1-line block ×3, first 2 shown]
	v_or_b32_e32 v27, 0x600, v17
	v_lshlrev_b64 v[23:24], 2, v[23:24]
	v_add_co_u32 v45, vcc_lo, s2, v45
	v_or_b32_e32 v29, 0x700, v17
	v_lshlrev_b64 v[25:26], 2, v[25:26]
	v_add_co_ci_u32_e64 v46, null, s3, v46, vcc_lo
	v_add_co_u32 v19, vcc_lo, s2, v19
	v_mov_b32_e32 v32, v18
	v_or_b32_e32 v31, 0x800, v17
	v_lshlrev_b64 v[27:28], 2, v[27:28]
	v_add_co_ci_u32_e64 v20, null, s3, v20, vcc_lo
	v_add_co_u32 v21, vcc_lo, s2, v21
	v_mov_b32_e32 v34, v18
	v_or_b32_e32 v33, 0x900, v17
	v_lshlrev_b64 v[29:30], 2, v[29:30]
	v_add_co_ci_u32_e64 v22, null, s3, v22, vcc_lo
	v_add_co_u32 v23, vcc_lo, s2, v23
	v_mov_b32_e32 v36, v18
	v_or_b32_e32 v35, 0xa00, v17
	v_lshlrev_b64 v[31:32], 2, v[31:32]
	v_add_co_ci_u32_e64 v24, null, s3, v24, vcc_lo
	v_add_co_u32 v25, vcc_lo, s2, v25
	v_mov_b32_e32 v38, v18
	v_or_b32_e32 v37, 0xb00, v17
	v_lshlrev_b64 v[33:34], 2, v[33:34]
	v_add_co_ci_u32_e64 v26, null, s3, v26, vcc_lo
	v_add_co_u32 v27, vcc_lo, s2, v27
	v_mov_b32_e32 v40, v18
	v_or_b32_e32 v39, 0xc00, v17
	v_lshlrev_b64 v[35:36], 2, v[35:36]
	v_add_co_ci_u32_e64 v28, null, s3, v28, vcc_lo
	v_add_co_u32 v29, vcc_lo, s2, v29
	v_mov_b32_e32 v42, v18
	v_or_b32_e32 v41, 0xd00, v17
	v_lshlrev_b64 v[37:38], 2, v[37:38]
	v_add_co_ci_u32_e64 v30, null, s3, v30, vcc_lo
	v_add_co_u32 v31, vcc_lo, s2, v31
	v_mov_b32_e32 v44, v18
	v_or_b32_e32 v43, 0xe00, v17
	v_lshlrev_b64 v[39:40], 2, v[39:40]
	v_add_co_ci_u32_e64 v32, null, s3, v32, vcc_lo
	v_add_co_u32 v33, vcc_lo, s2, v33
	v_or_b32_e32 v17, 0xf00, v17
	v_lshlrev_b64 v[41:42], 2, v[41:42]
	v_add_co_ci_u32_e64 v34, null, s3, v34, vcc_lo
	v_add_co_u32 v35, vcc_lo, s2, v35
	v_lshlrev_b64 v[43:44], 2, v[43:44]
	v_add_co_ci_u32_e64 v36, null, s3, v36, vcc_lo
	v_add_co_u32 v37, vcc_lo, s2, v37
	v_lshlrev_b64 v[17:18], 2, v[17:18]
	v_add_co_ci_u32_e64 v38, null, s3, v38, vcc_lo
	v_add_co_u32 v39, vcc_lo, s2, v39
	v_add_co_ci_u32_e64 v40, null, s3, v40, vcc_lo
	v_add_co_u32 v41, vcc_lo, s2, v41
	v_add_co_ci_u32_e64 v42, null, s3, v42, vcc_lo
	v_add_co_u32 v43, vcc_lo, s2, v43
	;; [unrolled: 2-line block ×3, first 2 shown]
	v_add_co_ci_u32_e64 v18, null, s3, v18, vcc_lo
	s_waitcnt vmcnt(3)
	global_store_dword v[45:46], v1, off
	global_store_dword v[45:46], v2, off offset:1024
	global_store_dword v[19:20], v3, off
	global_store_dword v[21:22], v4, off
	s_waitcnt vmcnt(2)
	global_store_dword v[23:24], v5, off
	global_store_dword v[25:26], v6, off
	global_store_dword v[27:28], v7, off
	global_store_dword v[29:30], v8, off
	s_waitcnt vmcnt(1)
	global_store_dword v[31:32], v9, off
	global_store_dword v[33:34], v10, off
	;; [unrolled: 5-line block ×3, first 2 shown]
	global_store_dword v[43:44], v15, off
	global_store_dword v[17:18], v16, off
	s_endpgm
	.section	.rodata,"a",@progbits
	.p2align	6, 0x0
	.amdhsa_kernel _Z16warp_load_kernelILj256ELj16ELj64ELN6hipcub17WarpLoadAlgorithmE2EiEvPT3_S3_
		.amdhsa_group_segment_fixed_size 0
		.amdhsa_private_segment_fixed_size 0
		.amdhsa_kernarg_size 16
		.amdhsa_user_sgpr_count 6
		.amdhsa_user_sgpr_private_segment_buffer 1
		.amdhsa_user_sgpr_dispatch_ptr 0
		.amdhsa_user_sgpr_queue_ptr 0
		.amdhsa_user_sgpr_kernarg_segment_ptr 1
		.amdhsa_user_sgpr_dispatch_id 0
		.amdhsa_user_sgpr_flat_scratch_init 0
		.amdhsa_user_sgpr_private_segment_size 0
		.amdhsa_wavefront_size32 1
		.amdhsa_uses_dynamic_stack 0
		.amdhsa_system_sgpr_private_segment_wavefront_offset 0
		.amdhsa_system_sgpr_workgroup_id_x 1
		.amdhsa_system_sgpr_workgroup_id_y 0
		.amdhsa_system_sgpr_workgroup_id_z 0
		.amdhsa_system_sgpr_workgroup_info 0
		.amdhsa_system_vgpr_workitem_id 0
		.amdhsa_next_free_vgpr 47
		.amdhsa_next_free_sgpr 7
		.amdhsa_reserve_vcc 1
		.amdhsa_reserve_flat_scratch 0
		.amdhsa_float_round_mode_32 0
		.amdhsa_float_round_mode_16_64 0
		.amdhsa_float_denorm_mode_32 3
		.amdhsa_float_denorm_mode_16_64 3
		.amdhsa_dx10_clamp 1
		.amdhsa_ieee_mode 1
		.amdhsa_fp16_overflow 0
		.amdhsa_workgroup_processor_mode 1
		.amdhsa_memory_ordered 1
		.amdhsa_forward_progress 1
		.amdhsa_shared_vgpr_count 0
		.amdhsa_exception_fp_ieee_invalid_op 0
		.amdhsa_exception_fp_denorm_src 0
		.amdhsa_exception_fp_ieee_div_zero 0
		.amdhsa_exception_fp_ieee_overflow 0
		.amdhsa_exception_fp_ieee_underflow 0
		.amdhsa_exception_fp_ieee_inexact 0
		.amdhsa_exception_int_div_zero 0
	.end_amdhsa_kernel
	.section	.text._Z16warp_load_kernelILj256ELj16ELj64ELN6hipcub17WarpLoadAlgorithmE2EiEvPT3_S3_,"axG",@progbits,_Z16warp_load_kernelILj256ELj16ELj64ELN6hipcub17WarpLoadAlgorithmE2EiEvPT3_S3_,comdat
.Lfunc_end47:
	.size	_Z16warp_load_kernelILj256ELj16ELj64ELN6hipcub17WarpLoadAlgorithmE2EiEvPT3_S3_, .Lfunc_end47-_Z16warp_load_kernelILj256ELj16ELj64ELN6hipcub17WarpLoadAlgorithmE2EiEvPT3_S3_
                                        ; -- End function
	.set _Z16warp_load_kernelILj256ELj16ELj64ELN6hipcub17WarpLoadAlgorithmE2EiEvPT3_S3_.num_vgpr, 47
	.set _Z16warp_load_kernelILj256ELj16ELj64ELN6hipcub17WarpLoadAlgorithmE2EiEvPT3_S3_.num_agpr, 0
	.set _Z16warp_load_kernelILj256ELj16ELj64ELN6hipcub17WarpLoadAlgorithmE2EiEvPT3_S3_.numbered_sgpr, 7
	.set _Z16warp_load_kernelILj256ELj16ELj64ELN6hipcub17WarpLoadAlgorithmE2EiEvPT3_S3_.num_named_barrier, 0
	.set _Z16warp_load_kernelILj256ELj16ELj64ELN6hipcub17WarpLoadAlgorithmE2EiEvPT3_S3_.private_seg_size, 0
	.set _Z16warp_load_kernelILj256ELj16ELj64ELN6hipcub17WarpLoadAlgorithmE2EiEvPT3_S3_.uses_vcc, 1
	.set _Z16warp_load_kernelILj256ELj16ELj64ELN6hipcub17WarpLoadAlgorithmE2EiEvPT3_S3_.uses_flat_scratch, 0
	.set _Z16warp_load_kernelILj256ELj16ELj64ELN6hipcub17WarpLoadAlgorithmE2EiEvPT3_S3_.has_dyn_sized_stack, 0
	.set _Z16warp_load_kernelILj256ELj16ELj64ELN6hipcub17WarpLoadAlgorithmE2EiEvPT3_S3_.has_recursion, 0
	.set _Z16warp_load_kernelILj256ELj16ELj64ELN6hipcub17WarpLoadAlgorithmE2EiEvPT3_S3_.has_indirect_call, 0
	.section	.AMDGPU.csdata,"",@progbits
; Kernel info:
; codeLenInByte = 800
; TotalNumSgprs: 9
; NumVgprs: 47
; ScratchSize: 0
; MemoryBound: 0
; FloatMode: 240
; IeeeMode: 1
; LDSByteSize: 0 bytes/workgroup (compile time only)
; SGPRBlocks: 0
; VGPRBlocks: 5
; NumSGPRsForWavesPerEU: 9
; NumVGPRsForWavesPerEU: 47
; Occupancy: 16
; WaveLimiterHint : 1
; COMPUTE_PGM_RSRC2:SCRATCH_EN: 0
; COMPUTE_PGM_RSRC2:USER_SGPR: 6
; COMPUTE_PGM_RSRC2:TRAP_HANDLER: 0
; COMPUTE_PGM_RSRC2:TGID_X_EN: 1
; COMPUTE_PGM_RSRC2:TGID_Y_EN: 0
; COMPUTE_PGM_RSRC2:TGID_Z_EN: 0
; COMPUTE_PGM_RSRC2:TIDIG_COMP_CNT: 0
	.section	.text._Z16warp_load_kernelILj256ELj16ELj64ELN6hipcub17WarpLoadAlgorithmE3EiEvPT3_S3_,"axG",@progbits,_Z16warp_load_kernelILj256ELj16ELj64ELN6hipcub17WarpLoadAlgorithmE3EiEvPT3_S3_,comdat
	.protected	_Z16warp_load_kernelILj256ELj16ELj64ELN6hipcub17WarpLoadAlgorithmE3EiEvPT3_S3_ ; -- Begin function _Z16warp_load_kernelILj256ELj16ELj64ELN6hipcub17WarpLoadAlgorithmE3EiEvPT3_S3_
	.globl	_Z16warp_load_kernelILj256ELj16ELj64ELN6hipcub17WarpLoadAlgorithmE3EiEvPT3_S3_
	.p2align	8
	.type	_Z16warp_load_kernelILj256ELj16ELj64ELN6hipcub17WarpLoadAlgorithmE3EiEvPT3_S3_,@function
_Z16warp_load_kernelILj256ELj16ELj64ELN6hipcub17WarpLoadAlgorithmE3EiEvPT3_S3_: ; @_Z16warp_load_kernelILj256ELj16ELj64ELN6hipcub17WarpLoadAlgorithmE3EiEvPT3_S3_
; %bb.0:
	s_load_dwordx4 s[0:3], s[4:5], 0x0
	v_lshrrev_b32_e32 v7, 6, v0
	s_lshl_b32 s4, s6, 12
	v_mov_b32_e32 v2, 0
	v_mbcnt_lo_u32_b32 v9, -1, 0
	v_lshl_or_b32 v1, v7, 10, s4
	v_mov_b32_e32 v8, v2
	v_lshlrev_b32_e32 v11, 2, v9
	v_mov_b32_e32 v10, v2
	v_lshlrev_b64 v[3:4], 2, v[1:2]
	v_mov_b32_e32 v12, v2
	v_mov_b32_e32 v14, v2
	;; [unrolled: 1-line block ×8, first 2 shown]
	s_waitcnt lgkmcnt(0)
	v_add_co_u32 v1, vcc_lo, s0, v3
	v_add_co_ci_u32_e64 v4, null, s1, v4, vcc_lo
	v_mov_b32_e32 v28, v2
	v_add_co_u32 v3, vcc_lo, v1, v11
	v_add_co_ci_u32_e64 v4, null, 0, v4, vcc_lo
	v_or_b32_e32 v1, s4, v0
	v_add_co_u32 v5, vcc_lo, 0x800, v3
	v_add_co_ci_u32_e64 v6, null, 0, v4, vcc_lo
	s_clause 0xf
	global_load_dword v47, v[3:4], off
	global_load_dword v48, v[3:4], off offset:256
	global_load_dword v49, v[3:4], off offset:512
	;; [unrolled: 1-line block ×7, first 2 shown]
	global_load_dword v55, v[5:6], off
	global_load_dword v56, v[5:6], off offset:256
	global_load_dword v57, v[5:6], off offset:512
	global_load_dword v58, v[5:6], off offset:768
	global_load_dword v59, v[5:6], off offset:1024
	global_load_dword v60, v[5:6], off offset:1280
	global_load_dword v61, v[5:6], off offset:1536
	global_load_dword v62, v[5:6], off offset:1792
	v_lshlrev_b32_e32 v3, 12, v7
	v_mov_b32_e32 v4, v2
	v_mov_b32_e32 v6, v2
	v_or_b32_e32 v5, 0x300, v1
	v_lshlrev_b64 v[29:30], 2, v[1:2]
	v_or_b32_e32 v0, v3, v11
	v_lshl_or_b32 v63, v9, 6, v3
	v_or_b32_e32 v3, 0x200, v1
	v_or_b32_e32 v7, 0x400, v1
	v_or_b32_e32 v9, 0x500, v1
	v_lshlrev_b64 v[5:6], 2, v[5:6]
	v_or_b32_e32 v11, 0x600, v1
	v_lshlrev_b64 v[3:4], 2, v[3:4]
	v_lshlrev_b64 v[7:8], 2, v[7:8]
	v_add_co_u32 v29, vcc_lo, s2, v29
	v_or_b32_e32 v13, 0x700, v1
	v_lshlrev_b64 v[9:10], 2, v[9:10]
	v_add_co_ci_u32_e64 v30, null, s3, v30, vcc_lo
	v_add_co_u32 v33, vcc_lo, s2, v3
	v_or_b32_e32 v15, 0x800, v1
	v_lshlrev_b64 v[11:12], 2, v[11:12]
	v_add_co_ci_u32_e64 v34, null, s3, v4, vcc_lo
	v_add_co_u32 v35, vcc_lo, s2, v5
	v_or_b32_e32 v17, 0x900, v1
	v_or_b32_e32 v19, 0xa00, v1
	;; [unrolled: 1-line block ×7, first 2 shown]
	v_lshlrev_b64 v[13:14], 2, v[13:14]
	v_add_co_ci_u32_e64 v36, null, s3, v6, vcc_lo
	v_add_co_u32 v37, vcc_lo, s2, v7
	v_lshlrev_b64 v[15:16], 2, v[15:16]
	v_add_co_ci_u32_e64 v38, null, s3, v8, vcc_lo
	v_add_co_u32 v39, vcc_lo, s2, v9
	v_lshlrev_b64 v[17:18], 2, v[17:18]
	v_lshlrev_b64 v[31:32], 2, v[1:2]
	v_add_co_ci_u32_e64 v40, null, s3, v10, vcc_lo
	v_add_co_u32 v41, vcc_lo, s2, v11
	v_lshlrev_b64 v[19:20], 2, v[19:20]
	v_add_co_ci_u32_e64 v42, null, s3, v12, vcc_lo
	v_add_co_u32 v43, vcc_lo, s2, v13
	;; [unrolled: 3-line block ×6, first 2 shown]
	v_add_co_ci_u32_e64 v21, null, s3, v22, vcc_lo
	v_add_co_u32 v22, vcc_lo, s2, v23
	v_add_co_ci_u32_e64 v23, null, s3, v24, vcc_lo
	v_add_co_u32 v24, vcc_lo, s2, v25
	v_add_co_ci_u32_e64 v25, null, s3, v26, vcc_lo
	v_add_co_u32 v26, vcc_lo, s2, v27
	v_add_co_ci_u32_e64 v27, null, s3, v28, vcc_lo
	v_add_co_u32 v31, vcc_lo, s2, v31
	v_add_co_ci_u32_e64 v32, null, s3, v32, vcc_lo
	s_waitcnt vmcnt(14)
	ds_write2st64_b32 v0, v47, v48 offset1:1
	s_waitcnt vmcnt(12)
	ds_write2st64_b32 v0, v49, v50 offset0:2 offset1:3
	s_waitcnt vmcnt(10)
	ds_write2st64_b32 v0, v51, v52 offset0:4 offset1:5
	;; [unrolled: 2-line block ×7, first 2 shown]
	; wave barrier
	ds_read_b128 v[0:3], v63
	ds_read_b128 v[4:7], v63 offset:16
	ds_read_b128 v[8:11], v63 offset:32
	;; [unrolled: 1-line block ×3, first 2 shown]
	s_waitcnt lgkmcnt(3)
	global_store_dword v[29:30], v0, off
	global_store_dword v[29:30], v1, off offset:1024
	global_store_dword v[33:34], v2, off
	global_store_dword v[35:36], v3, off
	s_waitcnt lgkmcnt(2)
	global_store_dword v[37:38], v4, off
	global_store_dword v[39:40], v5, off
	global_store_dword v[41:42], v6, off
	global_store_dword v[43:44], v7, off
	s_waitcnt lgkmcnt(1)
	global_store_dword v[45:46], v8, off
	global_store_dword v[16:17], v9, off
	;; [unrolled: 5-line block ×3, first 2 shown]
	global_store_dword v[26:27], v14, off
	global_store_dword v[31:32], v15, off
	s_endpgm
	.section	.rodata,"a",@progbits
	.p2align	6, 0x0
	.amdhsa_kernel _Z16warp_load_kernelILj256ELj16ELj64ELN6hipcub17WarpLoadAlgorithmE3EiEvPT3_S3_
		.amdhsa_group_segment_fixed_size 16384
		.amdhsa_private_segment_fixed_size 0
		.amdhsa_kernarg_size 16
		.amdhsa_user_sgpr_count 6
		.amdhsa_user_sgpr_private_segment_buffer 1
		.amdhsa_user_sgpr_dispatch_ptr 0
		.amdhsa_user_sgpr_queue_ptr 0
		.amdhsa_user_sgpr_kernarg_segment_ptr 1
		.amdhsa_user_sgpr_dispatch_id 0
		.amdhsa_user_sgpr_flat_scratch_init 0
		.amdhsa_user_sgpr_private_segment_size 0
		.amdhsa_wavefront_size32 1
		.amdhsa_uses_dynamic_stack 0
		.amdhsa_system_sgpr_private_segment_wavefront_offset 0
		.amdhsa_system_sgpr_workgroup_id_x 1
		.amdhsa_system_sgpr_workgroup_id_y 0
		.amdhsa_system_sgpr_workgroup_id_z 0
		.amdhsa_system_sgpr_workgroup_info 0
		.amdhsa_system_vgpr_workitem_id 0
		.amdhsa_next_free_vgpr 64
		.amdhsa_next_free_sgpr 7
		.amdhsa_reserve_vcc 1
		.amdhsa_reserve_flat_scratch 0
		.amdhsa_float_round_mode_32 0
		.amdhsa_float_round_mode_16_64 0
		.amdhsa_float_denorm_mode_32 3
		.amdhsa_float_denorm_mode_16_64 3
		.amdhsa_dx10_clamp 1
		.amdhsa_ieee_mode 1
		.amdhsa_fp16_overflow 0
		.amdhsa_workgroup_processor_mode 1
		.amdhsa_memory_ordered 1
		.amdhsa_forward_progress 1
		.amdhsa_shared_vgpr_count 0
		.amdhsa_exception_fp_ieee_invalid_op 0
		.amdhsa_exception_fp_denorm_src 0
		.amdhsa_exception_fp_ieee_div_zero 0
		.amdhsa_exception_fp_ieee_overflow 0
		.amdhsa_exception_fp_ieee_underflow 0
		.amdhsa_exception_fp_ieee_inexact 0
		.amdhsa_exception_int_div_zero 0
	.end_amdhsa_kernel
	.section	.text._Z16warp_load_kernelILj256ELj16ELj64ELN6hipcub17WarpLoadAlgorithmE3EiEvPT3_S3_,"axG",@progbits,_Z16warp_load_kernelILj256ELj16ELj64ELN6hipcub17WarpLoadAlgorithmE3EiEvPT3_S3_,comdat
.Lfunc_end48:
	.size	_Z16warp_load_kernelILj256ELj16ELj64ELN6hipcub17WarpLoadAlgorithmE3EiEvPT3_S3_, .Lfunc_end48-_Z16warp_load_kernelILj256ELj16ELj64ELN6hipcub17WarpLoadAlgorithmE3EiEvPT3_S3_
                                        ; -- End function
	.set _Z16warp_load_kernelILj256ELj16ELj64ELN6hipcub17WarpLoadAlgorithmE3EiEvPT3_S3_.num_vgpr, 64
	.set _Z16warp_load_kernelILj256ELj16ELj64ELN6hipcub17WarpLoadAlgorithmE3EiEvPT3_S3_.num_agpr, 0
	.set _Z16warp_load_kernelILj256ELj16ELj64ELN6hipcub17WarpLoadAlgorithmE3EiEvPT3_S3_.numbered_sgpr, 7
	.set _Z16warp_load_kernelILj256ELj16ELj64ELN6hipcub17WarpLoadAlgorithmE3EiEvPT3_S3_.num_named_barrier, 0
	.set _Z16warp_load_kernelILj256ELj16ELj64ELN6hipcub17WarpLoadAlgorithmE3EiEvPT3_S3_.private_seg_size, 0
	.set _Z16warp_load_kernelILj256ELj16ELj64ELN6hipcub17WarpLoadAlgorithmE3EiEvPT3_S3_.uses_vcc, 1
	.set _Z16warp_load_kernelILj256ELj16ELj64ELN6hipcub17WarpLoadAlgorithmE3EiEvPT3_S3_.uses_flat_scratch, 0
	.set _Z16warp_load_kernelILj256ELj16ELj64ELN6hipcub17WarpLoadAlgorithmE3EiEvPT3_S3_.has_dyn_sized_stack, 0
	.set _Z16warp_load_kernelILj256ELj16ELj64ELN6hipcub17WarpLoadAlgorithmE3EiEvPT3_S3_.has_recursion, 0
	.set _Z16warp_load_kernelILj256ELj16ELj64ELN6hipcub17WarpLoadAlgorithmE3EiEvPT3_S3_.has_indirect_call, 0
	.section	.AMDGPU.csdata,"",@progbits
; Kernel info:
; codeLenInByte = 1056
; TotalNumSgprs: 9
; NumVgprs: 64
; ScratchSize: 0
; MemoryBound: 0
; FloatMode: 240
; IeeeMode: 1
; LDSByteSize: 16384 bytes/workgroup (compile time only)
; SGPRBlocks: 0
; VGPRBlocks: 7
; NumSGPRsForWavesPerEU: 9
; NumVGPRsForWavesPerEU: 64
; Occupancy: 16
; WaveLimiterHint : 1
; COMPUTE_PGM_RSRC2:SCRATCH_EN: 0
; COMPUTE_PGM_RSRC2:USER_SGPR: 6
; COMPUTE_PGM_RSRC2:TRAP_HANDLER: 0
; COMPUTE_PGM_RSRC2:TGID_X_EN: 1
; COMPUTE_PGM_RSRC2:TGID_Y_EN: 0
; COMPUTE_PGM_RSRC2:TGID_Z_EN: 0
; COMPUTE_PGM_RSRC2:TIDIG_COMP_CNT: 0
	.section	.text._Z16warp_load_kernelILj256ELj32ELj64ELN6hipcub17WarpLoadAlgorithmE0EiEvPT3_S3_,"axG",@progbits,_Z16warp_load_kernelILj256ELj32ELj64ELN6hipcub17WarpLoadAlgorithmE0EiEvPT3_S3_,comdat
	.protected	_Z16warp_load_kernelILj256ELj32ELj64ELN6hipcub17WarpLoadAlgorithmE0EiEvPT3_S3_ ; -- Begin function _Z16warp_load_kernelILj256ELj32ELj64ELN6hipcub17WarpLoadAlgorithmE0EiEvPT3_S3_
	.globl	_Z16warp_load_kernelILj256ELj32ELj64ELN6hipcub17WarpLoadAlgorithmE0EiEvPT3_S3_
	.p2align	8
	.type	_Z16warp_load_kernelILj256ELj32ELj64ELN6hipcub17WarpLoadAlgorithmE0EiEvPT3_S3_,@function
_Z16warp_load_kernelILj256ELj32ELj64ELN6hipcub17WarpLoadAlgorithmE0EiEvPT3_S3_: ; @_Z16warp_load_kernelILj256ELj32ELj64ELN6hipcub17WarpLoadAlgorithmE0EiEvPT3_S3_
; %bb.0:
	s_load_dwordx4 s[0:3], s[4:5], 0x0
	v_lshlrev_b32_e32 v1, 5, v0
	s_lshl_b32 s4, s6, 13
	v_mov_b32_e32 v34, 0
	v_mbcnt_lo_u32_b32 v3, -1, 0
	v_and_or_b32 v33, 0x1800, v1, s4
	v_mov_b32_e32 v36, v34
	v_lshlrev_b32_e32 v3, 7, v3
	v_mov_b32_e32 v38, v34
	v_lshlrev_b64 v[1:2], 2, v[33:34]
	v_or_b32_e32 v33, s4, v0
	v_mov_b32_e32 v39, v34
	v_mov_b32_e32 v41, v34
	;; [unrolled: 1-line block ×4, first 2 shown]
	v_or_b32_e32 v35, 0x200, v33
	v_or_b32_e32 v37, 0x300, v33
	v_lshlrev_b64 v[51:52], 2, v[33:34]
	s_waitcnt lgkmcnt(0)
	v_add_co_u32 v1, vcc_lo, s0, v1
	v_add_co_ci_u32_e64 v2, null, s1, v2, vcc_lo
	v_lshlrev_b64 v[35:36], 2, v[35:36]
	v_add_co_u32 v29, vcc_lo, v1, v3
	v_add_co_ci_u32_e64 v30, null, 0, v2, vcc_lo
	v_lshlrev_b64 v[37:38], 2, v[37:38]
	v_add_co_u32 v51, vcc_lo, s2, v51
	s_clause 0x7
	global_load_dwordx4 v[1:4], v[29:30], off
	global_load_dwordx4 v[5:8], v[29:30], off offset:16
	global_load_dwordx4 v[9:12], v[29:30], off offset:32
	;; [unrolled: 1-line block ×7, first 2 shown]
	v_add_co_ci_u32_e64 v52, null, s3, v52, vcc_lo
	v_add_co_u32 v35, vcc_lo, s2, v35
	v_add_co_ci_u32_e64 v36, null, s3, v36, vcc_lo
	v_add_co_u32 v55, vcc_lo, s2, v37
	v_add_co_ci_u32_e64 v56, null, s3, v38, vcc_lo
	v_or_b32_e32 v38, 0x400, v33
	v_or_b32_e32 v40, 0x500, v33
	;; [unrolled: 1-line block ×4, first 2 shown]
	v_mov_b32_e32 v46, v34
	v_mov_b32_e32 v48, v34
	v_lshlrev_b64 v[40:41], 2, v[40:41]
	v_lshlrev_b64 v[42:43], 2, v[42:43]
	;; [unrolled: 1-line block ×3, first 2 shown]
	v_or_b32_e32 v47, 0x900, v33
	v_mov_b32_e32 v50, v34
	v_or_b32_e32 v49, 0xa00, v33
	v_mov_b32_e32 v53, v34
	v_mov_b32_e32 v54, v34
	;; [unrolled: 1-line block ×3, first 2 shown]
	v_or_b32_e32 v0, 0xe00, v33
	v_mov_b32_e32 v58, v34
	v_or_b32_e32 v57, 0x1800, v33
	v_mov_b32_e32 v60, v34
	v_or_b32_e32 v59, 0x1a00, v33
	v_mov_b32_e32 v62, v34
	v_or_b32_e32 v61, 0x1d00, v33
	s_waitcnt vmcnt(7)
	global_store_dword v[51:52], v1, off
	global_store_dword v[51:52], v2, off offset:1024
	global_store_dword v[35:36], v3, off
	v_lshlrev_b64 v[35:36], 2, v[38:39]
	global_store_dword v[55:56], v4, off
	v_or_b32_e32 v52, 0xb00, v33
	v_mov_b32_e32 v1, v34
	v_mov_b32_e32 v3, v34
	;; [unrolled: 1-line block ×3, first 2 shown]
	v_add_co_u32 v35, vcc_lo, s2, v35
	v_add_co_ci_u32_e64 v36, null, s3, v36, vcc_lo
	v_add_co_u32 v40, vcc_lo, s2, v40
	v_add_co_ci_u32_e64 v41, null, s3, v41, vcc_lo
	;; [unrolled: 2-line block ×4, first 2 shown]
	v_or_b32_e32 v45, 0x800, v33
	s_waitcnt vmcnt(6)
	global_store_dword v[35:36], v5, off
	global_store_dword v[42:43], v7, off
	v_lshlrev_b64 v[42:43], 2, v[47:48]
	v_lshlrev_b64 v[47:48], 2, v[49:50]
	;; [unrolled: 1-line block ×4, first 2 shown]
	v_or_b32_e32 v53, 0xc00, v33
	v_or_b32_e32 v2, 0xf00, v33
	v_lshlrev_b64 v[0:1], 2, v[0:1]
	v_or_b32_e32 v38, 0x1100, v33
	v_add_co_u32 v35, vcc_lo, s2, v35
	v_add_co_ci_u32_e64 v36, null, s3, v36, vcc_lo
	v_add_co_u32 v42, vcc_lo, s2, v42
	v_add_co_ci_u32_e64 v43, null, s3, v43, vcc_lo
	;; [unrolled: 2-line block ×4, first 2 shown]
	s_waitcnt vmcnt(5)
	global_store_dword v[35:36], v9, off
	v_or_b32_e32 v36, 0xd00, v33
	v_lshlrev_b64 v[52:53], 2, v[53:54]
	global_store_dword v[49:50], v12, off
	v_or_b32_e32 v50, 0x1000, v33
	v_lshlrev_b64 v[2:3], 2, v[2:3]
	v_lshlrev_b64 v[35:36], 2, v[36:37]
	v_mov_b32_e32 v44, v34
	global_store_dword v[42:43], v10, off
	v_lshlrev_b64 v[49:50], 2, v[50:51]
	v_add_co_u32 v51, vcc_lo, s2, v52
	v_or_b32_e32 v43, 0x1200, v33
	v_add_co_ci_u32_e64 v52, null, s3, v53, vcc_lo
	v_add_co_u32 v35, vcc_lo, s2, v35
	v_mov_b32_e32 v5, v34
	global_store_dword v[47:48], v11, off
	v_mov_b32_e32 v48, v34
	v_or_b32_e32 v4, 0x1300, v33
	v_or_b32_e32 v45, 0x1700, v33
	v_or_b32_e32 v47, 0x1c00, v33
	v_lshlrev_b64 v[37:38], 2, v[38:39]
	v_add_co_ci_u32_e64 v36, null, s3, v36, vcc_lo
	v_add_co_u32 v0, vcc_lo, s2, v0
	global_store_dword v[40:41], v6, off
	v_mov_b32_e32 v41, v34
	v_or_b32_e32 v40, 0x1400, v33
	v_lshlrev_b64 v[42:43], 2, v[43:44]
	v_add_co_ci_u32_e64 v1, null, s3, v1, vcc_lo
	v_add_co_u32 v2, vcc_lo, s2, v2
	v_mov_b32_e32 v7, v34
	v_or_b32_e32 v6, 0x1500, v33
	v_lshlrev_b64 v[4:5], 2, v[4:5]
	v_lshlrev_b64 v[44:45], 2, v[45:46]
	v_lshlrev_b64 v[46:47], 2, v[47:48]
	v_add_co_ci_u32_e64 v3, null, s3, v3, vcc_lo
	v_add_co_u32 v48, vcc_lo, s2, v49
	global_store_dword v[55:56], v8, off
	v_mov_b32_e32 v56, v34
	v_or_b32_e32 v55, 0x1600, v33
	v_lshlrev_b64 v[39:40], 2, v[40:41]
	v_add_co_ci_u32_e64 v49, null, s3, v50, vcc_lo
	v_add_co_u32 v37, vcc_lo, s2, v37
	v_lshlrev_b64 v[6:7], 2, v[6:7]
	v_add_co_ci_u32_e64 v38, null, s3, v38, vcc_lo
	v_add_co_u32 v41, vcc_lo, s2, v42
	;; [unrolled: 3-line block ×3, first 2 shown]
	v_mov_b32_e32 v9, v34
	v_or_b32_e32 v8, 0x1900, v33
	v_add_co_ci_u32_e64 v5, null, s3, v5, vcc_lo
	v_add_co_u32 v39, vcc_lo, s2, v39
	v_lshlrev_b64 v[56:57], 2, v[57:58]
	v_add_co_ci_u32_e64 v40, null, s3, v40, vcc_lo
	v_add_co_u32 v6, vcc_lo, s2, v6
	v_mov_b32_e32 v11, v34
	v_or_b32_e32 v10, 0x1b00, v33
	v_lshlrev_b64 v[8:9], 2, v[8:9]
	v_add_co_ci_u32_e64 v7, null, s3, v7, vcc_lo
	v_add_co_u32 v53, vcc_lo, s2, v54
	v_lshlrev_b64 v[58:59], 2, v[59:60]
	v_add_co_ci_u32_e64 v54, null, s3, v55, vcc_lo
	v_add_co_u32 v43, vcc_lo, s2, v44
	;; [unrolled: 3-line block ×3, first 2 shown]
	v_add_co_ci_u32_e64 v56, null, s3, v57, vcc_lo
	v_add_co_u32 v8, vcc_lo, s2, v8
	v_lshlrev_b64 v[60:61], 2, v[61:62]
	v_add_co_ci_u32_e64 v9, null, s3, v9, vcc_lo
	v_add_co_u32 v57, vcc_lo, s2, v58
	v_add_co_ci_u32_e64 v58, null, s3, v59, vcc_lo
	v_add_co_u32 v10, vcc_lo, s2, v10
	v_add_co_ci_u32_e64 v11, null, s3, v11, vcc_lo
	v_add_co_u32 v45, vcc_lo, s2, v46
	v_add_co_ci_u32_e64 v46, null, s3, v47, vcc_lo
	v_add_co_u32 v59, vcc_lo, s2, v60
	v_add_co_ci_u32_e64 v60, null, s3, v61, vcc_lo
	v_or_b32_e32 v61, 0x1e00, v33
	v_or_b32_e32 v33, 0x1f00, v33
	v_lshlrev_b64 v[61:62], 2, v[61:62]
	v_lshlrev_b64 v[33:34], 2, v[33:34]
	v_add_co_u32 v61, vcc_lo, s2, v61
	v_add_co_ci_u32_e64 v62, null, s3, v62, vcc_lo
	v_add_co_u32 v33, vcc_lo, s2, v33
	v_add_co_ci_u32_e64 v34, null, s3, v34, vcc_lo
	s_waitcnt vmcnt(4)
	global_store_dword v[51:52], v13, off
	global_store_dword v[35:36], v14, off
	global_store_dword v[0:1], v15, off
	global_store_dword v[2:3], v16, off
	s_waitcnt vmcnt(3)
	global_store_dword v[48:49], v17, off
	global_store_dword v[37:38], v18, off
	global_store_dword v[41:42], v19, off
	global_store_dword v[4:5], v20, off
	;; [unrolled: 5-line block ×5, first 2 shown]
	s_endpgm
	.section	.rodata,"a",@progbits
	.p2align	6, 0x0
	.amdhsa_kernel _Z16warp_load_kernelILj256ELj32ELj64ELN6hipcub17WarpLoadAlgorithmE0EiEvPT3_S3_
		.amdhsa_group_segment_fixed_size 0
		.amdhsa_private_segment_fixed_size 0
		.amdhsa_kernarg_size 16
		.amdhsa_user_sgpr_count 6
		.amdhsa_user_sgpr_private_segment_buffer 1
		.amdhsa_user_sgpr_dispatch_ptr 0
		.amdhsa_user_sgpr_queue_ptr 0
		.amdhsa_user_sgpr_kernarg_segment_ptr 1
		.amdhsa_user_sgpr_dispatch_id 0
		.amdhsa_user_sgpr_flat_scratch_init 0
		.amdhsa_user_sgpr_private_segment_size 0
		.amdhsa_wavefront_size32 1
		.amdhsa_uses_dynamic_stack 0
		.amdhsa_system_sgpr_private_segment_wavefront_offset 0
		.amdhsa_system_sgpr_workgroup_id_x 1
		.amdhsa_system_sgpr_workgroup_id_y 0
		.amdhsa_system_sgpr_workgroup_id_z 0
		.amdhsa_system_sgpr_workgroup_info 0
		.amdhsa_system_vgpr_workitem_id 0
		.amdhsa_next_free_vgpr 63
		.amdhsa_next_free_sgpr 7
		.amdhsa_reserve_vcc 1
		.amdhsa_reserve_flat_scratch 0
		.amdhsa_float_round_mode_32 0
		.amdhsa_float_round_mode_16_64 0
		.amdhsa_float_denorm_mode_32 3
		.amdhsa_float_denorm_mode_16_64 3
		.amdhsa_dx10_clamp 1
		.amdhsa_ieee_mode 1
		.amdhsa_fp16_overflow 0
		.amdhsa_workgroup_processor_mode 1
		.amdhsa_memory_ordered 1
		.amdhsa_forward_progress 1
		.amdhsa_shared_vgpr_count 0
		.amdhsa_exception_fp_ieee_invalid_op 0
		.amdhsa_exception_fp_denorm_src 0
		.amdhsa_exception_fp_ieee_div_zero 0
		.amdhsa_exception_fp_ieee_overflow 0
		.amdhsa_exception_fp_ieee_underflow 0
		.amdhsa_exception_fp_ieee_inexact 0
		.amdhsa_exception_int_div_zero 0
	.end_amdhsa_kernel
	.section	.text._Z16warp_load_kernelILj256ELj32ELj64ELN6hipcub17WarpLoadAlgorithmE0EiEvPT3_S3_,"axG",@progbits,_Z16warp_load_kernelILj256ELj32ELj64ELN6hipcub17WarpLoadAlgorithmE0EiEvPT3_S3_,comdat
.Lfunc_end49:
	.size	_Z16warp_load_kernelILj256ELj32ELj64ELN6hipcub17WarpLoadAlgorithmE0EiEvPT3_S3_, .Lfunc_end49-_Z16warp_load_kernelILj256ELj32ELj64ELN6hipcub17WarpLoadAlgorithmE0EiEvPT3_S3_
                                        ; -- End function
	.set _Z16warp_load_kernelILj256ELj32ELj64ELN6hipcub17WarpLoadAlgorithmE0EiEvPT3_S3_.num_vgpr, 63
	.set _Z16warp_load_kernelILj256ELj32ELj64ELN6hipcub17WarpLoadAlgorithmE0EiEvPT3_S3_.num_agpr, 0
	.set _Z16warp_load_kernelILj256ELj32ELj64ELN6hipcub17WarpLoadAlgorithmE0EiEvPT3_S3_.numbered_sgpr, 7
	.set _Z16warp_load_kernelILj256ELj32ELj64ELN6hipcub17WarpLoadAlgorithmE0EiEvPT3_S3_.num_named_barrier, 0
	.set _Z16warp_load_kernelILj256ELj32ELj64ELN6hipcub17WarpLoadAlgorithmE0EiEvPT3_S3_.private_seg_size, 0
	.set _Z16warp_load_kernelILj256ELj32ELj64ELN6hipcub17WarpLoadAlgorithmE0EiEvPT3_S3_.uses_vcc, 1
	.set _Z16warp_load_kernelILj256ELj32ELj64ELN6hipcub17WarpLoadAlgorithmE0EiEvPT3_S3_.uses_flat_scratch, 0
	.set _Z16warp_load_kernelILj256ELj32ELj64ELN6hipcub17WarpLoadAlgorithmE0EiEvPT3_S3_.has_dyn_sized_stack, 0
	.set _Z16warp_load_kernelILj256ELj32ELj64ELN6hipcub17WarpLoadAlgorithmE0EiEvPT3_S3_.has_recursion, 0
	.set _Z16warp_load_kernelILj256ELj32ELj64ELN6hipcub17WarpLoadAlgorithmE0EiEvPT3_S3_.has_indirect_call, 0
	.section	.AMDGPU.csdata,"",@progbits
; Kernel info:
; codeLenInByte = 1540
; TotalNumSgprs: 9
; NumVgprs: 63
; ScratchSize: 0
; MemoryBound: 0
; FloatMode: 240
; IeeeMode: 1
; LDSByteSize: 0 bytes/workgroup (compile time only)
; SGPRBlocks: 0
; VGPRBlocks: 7
; NumSGPRsForWavesPerEU: 9
; NumVGPRsForWavesPerEU: 63
; Occupancy: 16
; WaveLimiterHint : 1
; COMPUTE_PGM_RSRC2:SCRATCH_EN: 0
; COMPUTE_PGM_RSRC2:USER_SGPR: 6
; COMPUTE_PGM_RSRC2:TRAP_HANDLER: 0
; COMPUTE_PGM_RSRC2:TGID_X_EN: 1
; COMPUTE_PGM_RSRC2:TGID_Y_EN: 0
; COMPUTE_PGM_RSRC2:TGID_Z_EN: 0
; COMPUTE_PGM_RSRC2:TIDIG_COMP_CNT: 0
	.section	.text._Z16warp_load_kernelILj256ELj32ELj64ELN6hipcub17WarpLoadAlgorithmE1EiEvPT3_S3_,"axG",@progbits,_Z16warp_load_kernelILj256ELj32ELj64ELN6hipcub17WarpLoadAlgorithmE1EiEvPT3_S3_,comdat
	.protected	_Z16warp_load_kernelILj256ELj32ELj64ELN6hipcub17WarpLoadAlgorithmE1EiEvPT3_S3_ ; -- Begin function _Z16warp_load_kernelILj256ELj32ELj64ELN6hipcub17WarpLoadAlgorithmE1EiEvPT3_S3_
	.globl	_Z16warp_load_kernelILj256ELj32ELj64ELN6hipcub17WarpLoadAlgorithmE1EiEvPT3_S3_
	.p2align	8
	.type	_Z16warp_load_kernelILj256ELj32ELj64ELN6hipcub17WarpLoadAlgorithmE1EiEvPT3_S3_,@function
_Z16warp_load_kernelILj256ELj32ELj64ELN6hipcub17WarpLoadAlgorithmE1EiEvPT3_S3_: ; @_Z16warp_load_kernelILj256ELj32ELj64ELN6hipcub17WarpLoadAlgorithmE1EiEvPT3_S3_
; %bb.0:
	s_load_dwordx4 s[0:3], s[4:5], 0x0
	v_lshlrev_b32_e32 v1, 5, v0
	s_lshl_b32 s4, s6, 13
	v_mov_b32_e32 v2, 0
	v_mbcnt_lo_u32_b32 v5, -1, 0
	v_and_or_b32 v1, 0x1800, v1, s4
	v_mov_b32_e32 v12, v2
	v_mov_b32_e32 v14, v2
	;; [unrolled: 1-line block ×3, first 2 shown]
	v_lshlrev_b64 v[3:4], 2, v[1:2]
	v_lshlrev_b32_e32 v1, 2, v5
	v_mov_b32_e32 v18, v2
	v_mov_b32_e32 v20, v2
	;; [unrolled: 1-line block ×7, first 2 shown]
	s_waitcnt lgkmcnt(0)
	v_add_co_u32 v3, vcc_lo, s0, v3
	v_add_co_ci_u32_e64 v4, null, s1, v4, vcc_lo
	v_mov_b32_e32 v32, v2
	v_add_co_u32 v3, vcc_lo, v3, v1
	v_add_co_ci_u32_e64 v4, null, 0, v4, vcc_lo
	v_or_b32_e32 v1, s4, v0
	v_add_co_u32 v5, vcc_lo, v3, 0x1000
	s_clause 0x7
	global_load_dword v11, v[3:4], off
	global_load_dword v13, v[3:4], off offset:256
	global_load_dword v19, v[3:4], off offset:512
	global_load_dword v21, v[3:4], off offset:768
	global_load_dword v24, v[3:4], off offset:1024
	global_load_dword v26, v[3:4], off offset:1280
	global_load_dword v28, v[3:4], off offset:1536
	global_load_dword v33, v[3:4], off offset:1792
	v_add_co_ci_u32_e64 v6, null, 0, v4, vcc_lo
	v_add_co_u32 v7, vcc_lo, 0x800, v3
	v_add_co_ci_u32_e64 v8, null, 0, v4, vcc_lo
	s_clause 0x3
	global_load_dword v35, v[5:6], off offset:-2048
	global_load_dword v37, v[7:8], off offset:256
	global_load_dword v39, v[7:8], off offset:512
	;; [unrolled: 1-line block ×3, first 2 shown]
	v_add_co_u32 v9, vcc_lo, 0x1000, v3
	v_add_co_ci_u32_e64 v10, null, 0, v4, vcc_lo
	v_add_co_u32 v3, vcc_lo, 0x1800, v3
	v_add_co_ci_u32_e64 v4, null, 0, v4, vcc_lo
	s_clause 0x13
	global_load_dword v43, v[7:8], off offset:1024
	global_load_dword v44, v[7:8], off offset:1280
	global_load_dword v45, v[7:8], off offset:1536
	global_load_dword v46, v[7:8], off offset:1792
	global_load_dword v47, v[5:6], off
	global_load_dword v48, v[9:10], off offset:256
	global_load_dword v49, v[9:10], off offset:512
	;; [unrolled: 1-line block ×7, first 2 shown]
	global_load_dword v55, v[3:4], off
	global_load_dword v56, v[3:4], off offset:256
	global_load_dword v57, v[3:4], off offset:512
	;; [unrolled: 1-line block ×7, first 2 shown]
	v_lshlrev_b64 v[16:17], 2, v[1:2]
	v_mov_b32_e32 v4, v2
	v_or_b32_e32 v3, 0x200, v1
	v_mov_b32_e32 v6, v2
	v_or_b32_e32 v5, 0x300, v1
	v_mov_b32_e32 v8, v2
	v_add_co_u32 v16, vcc_lo, s2, v16
	v_add_co_ci_u32_e64 v17, null, s3, v17, vcc_lo
	v_or_b32_e32 v7, 0x400, v1
	v_lshlrev_b64 v[3:4], 2, v[3:4]
	v_mov_b32_e32 v10, v2
	v_or_b32_e32 v9, 0x500, v1
	v_lshlrev_b64 v[5:6], 2, v[5:6]
	v_lshlrev_b64 v[7:8], 2, v[7:8]
	v_mov_b32_e32 v34, v2
	v_add_co_u32 v3, vcc_lo, s2, v3
	v_lshlrev_b64 v[9:10], 2, v[9:10]
	v_add_co_ci_u32_e64 v4, null, s3, v4, vcc_lo
	v_add_co_u32 v5, vcc_lo, s2, v5
	v_add_co_ci_u32_e64 v6, null, s3, v6, vcc_lo
	v_add_co_u32 v7, vcc_lo, s2, v7
	;; [unrolled: 2-line block ×3, first 2 shown]
	v_add_co_ci_u32_e64 v10, null, s3, v10, vcc_lo
	v_mov_b32_e32 v36, v2
	v_mov_b32_e32 v38, v2
	;; [unrolled: 1-line block ×4, first 2 shown]
	s_waitcnt vmcnt(31)
	global_store_dword v[16:17], v11, off
	s_waitcnt vmcnt(30)
	global_store_dword v[16:17], v13, off offset:1024
	v_or_b32_e32 v11, 0x600, v1
	v_or_b32_e32 v13, 0x700, v1
	;; [unrolled: 1-line block ×3, first 2 shown]
	s_waitcnt vmcnt(29)
	global_store_dword v[3:4], v19, off
	v_or_b32_e32 v19, 0xa00, v1
	v_lshlrev_b64 v[11:12], 2, v[11:12]
	v_lshlrev_b64 v[13:14], 2, v[13:14]
	s_waitcnt vmcnt(28)
	global_store_dword v[5:6], v21, off
	v_or_b32_e32 v21, 0xb00, v1
	s_waitcnt vmcnt(27)
	global_store_dword v[7:8], v24, off
	v_or_b32_e32 v24, 0xd00, v1
	v_add_co_u32 v11, vcc_lo, s2, v11
	v_add_co_ci_u32_e64 v12, null, s3, v12, vcc_lo
	v_add_co_u32 v30, vcc_lo, s2, v13
	v_add_co_ci_u32_e64 v31, null, s3, v14, vcc_lo
	v_or_b32_e32 v14, 0x800, v1
	s_waitcnt vmcnt(25)
	global_store_dword v[11:12], v28, off
	v_mov_b32_e32 v16, v2
	global_store_dword v[9:10], v26, off
	v_or_b32_e32 v26, 0xf00, v1
	v_lshlrev_b64 v[11:12], 2, v[14:15]
	v_lshlrev_b64 v[14:15], 2, v[17:18]
	;; [unrolled: 1-line block ×4, first 2 shown]
	v_or_b32_e32 v22, 0xc00, v1
	v_mov_b32_e32 v21, v2
	v_add_co_u32 v11, vcc_lo, s2, v11
	v_add_co_ci_u32_e64 v12, null, s3, v12, vcc_lo
	v_add_co_u32 v14, vcc_lo, s2, v14
	v_add_co_ci_u32_e64 v15, null, s3, v15, vcc_lo
	;; [unrolled: 2-line block ×4, first 2 shown]
	s_waitcnt vmcnt(22)
	global_store_dword v[14:15], v37, off
	v_or_b32_e32 v15, 0xe00, v1
	v_lshlrev_b64 v[22:23], 2, v[22:23]
	s_waitcnt vmcnt(20)
	global_store_dword v[19:20], v41, off
	v_or_b32_e32 v20, 0x1800, v1
	v_lshlrev_b64 v[24:25], 2, v[24:25]
	v_mov_b32_e32 v4, v2
	v_or_b32_e32 v3, 0x1000, v1
	v_lshlrev_b64 v[14:15], 2, v[15:16]
	v_mov_b32_e32 v6, v2
	v_mov_b32_e32 v13, v2
	global_store_dword v[11:12], v35, off
	v_or_b32_e32 v5, 0x1100, v1
	v_or_b32_e32 v12, 0x1500, v1
	v_lshlrev_b64 v[26:27], 2, v[26:27]
	v_lshlrev_b64 v[19:20], 2, v[20:21]
	v_add_co_u32 v21, vcc_lo, s2, v22
	v_or_b32_e32 v28, 0x1200, v1
	v_lshlrev_b64 v[3:4], 2, v[3:4]
	v_add_co_ci_u32_e64 v22, null, s3, v23, vcc_lo
	v_add_co_u32 v23, vcc_lo, s2, v24
	v_mov_b32_e32 v8, v2
	v_or_b32_e32 v7, 0x1300, v1
	v_lshlrev_b64 v[5:6], 2, v[5:6]
	v_lshlrev_b64 v[11:12], 2, v[12:13]
	v_add_co_ci_u32_e64 v24, null, s3, v25, vcc_lo
	v_add_co_u32 v13, vcc_lo, s2, v14
	v_mov_b32_e32 v10, v2
	v_or_b32_e32 v9, 0x1400, v1
	v_lshlrev_b64 v[28:29], 2, v[28:29]
	v_add_co_ci_u32_e64 v14, null, s3, v15, vcc_lo
	v_add_co_u32 v25, vcc_lo, s2, v26
	v_lshlrev_b64 v[7:8], 2, v[7:8]
	v_add_co_ci_u32_e64 v26, null, s3, v27, vcc_lo
	v_add_co_u32 v3, vcc_lo, s2, v3
	global_store_dword v[30:31], v33, off
	v_or_b32_e32 v31, 0x1600, v1
	v_lshlrev_b64 v[9:10], 2, v[9:10]
	v_add_co_ci_u32_e64 v4, null, s3, v4, vcc_lo
	v_add_co_u32 v5, vcc_lo, s2, v5
	v_or_b32_e32 v33, 0x1700, v1
	v_add_co_ci_u32_e64 v6, null, s3, v6, vcc_lo
	v_add_co_u32 v27, vcc_lo, s2, v28
	v_lshlrev_b64 v[30:31], 2, v[31:32]
	v_add_co_ci_u32_e64 v28, null, s3, v29, vcc_lo
	v_add_co_u32 v7, vcc_lo, s2, v7
	v_or_b32_e32 v35, 0x1900, v1
	v_lshlrev_b64 v[32:33], 2, v[33:34]
	v_add_co_ci_u32_e64 v8, null, s3, v8, vcc_lo
	v_add_co_u32 v9, vcc_lo, s2, v9
	v_or_b32_e32 v37, 0x1a00, v1
	v_add_co_ci_u32_e64 v10, null, s3, v10, vcc_lo
	v_add_co_u32 v11, vcc_lo, s2, v11
	global_store_dword v[17:18], v39, off
	v_mov_b32_e32 v18, v2
	v_or_b32_e32 v39, 0x1b00, v1
	v_or_b32_e32 v17, 0x1c00, v1
	v_lshlrev_b64 v[34:35], 2, v[35:36]
	v_add_co_ci_u32_e64 v12, null, s3, v12, vcc_lo
	v_add_co_u32 v29, vcc_lo, s2, v30
	v_lshlrev_b64 v[36:37], 2, v[37:38]
	v_add_co_ci_u32_e64 v30, null, s3, v31, vcc_lo
	v_add_co_u32 v31, vcc_lo, s2, v32
	v_or_b32_e32 v41, 0x1d00, v1
	v_lshlrev_b64 v[38:39], 2, v[39:40]
	v_lshlrev_b64 v[16:17], 2, v[17:18]
	v_add_co_ci_u32_e64 v32, null, s3, v33, vcc_lo
	v_add_co_u32 v18, vcc_lo, s2, v19
	v_add_co_ci_u32_e64 v19, null, s3, v20, vcc_lo
	v_add_co_u32 v33, vcc_lo, s2, v34
	v_lshlrev_b64 v[40:41], 2, v[41:42]
	v_add_co_ci_u32_e64 v34, null, s3, v35, vcc_lo
	v_add_co_u32 v35, vcc_lo, s2, v36
	v_add_co_ci_u32_e64 v36, null, s3, v37, vcc_lo
	v_add_co_u32 v37, vcc_lo, s2, v38
	;; [unrolled: 2-line block ×4, first 2 shown]
	v_add_co_ci_u32_e64 v40, null, s3, v41, vcc_lo
	v_or_b32_e32 v41, 0x1e00, v1
	v_or_b32_e32 v1, 0x1f00, v1
	v_lshlrev_b64 v[41:42], 2, v[41:42]
	v_lshlrev_b64 v[0:1], 2, v[1:2]
	v_add_co_u32 v41, vcc_lo, s2, v41
	v_add_co_ci_u32_e64 v42, null, s3, v42, vcc_lo
	v_add_co_u32 v0, vcc_lo, s2, v0
	v_add_co_ci_u32_e64 v1, null, s3, v1, vcc_lo
	s_waitcnt vmcnt(19)
	global_store_dword v[21:22], v43, off
	s_waitcnt vmcnt(18)
	global_store_dword v[23:24], v44, off
	;; [unrolled: 2-line block ×20, first 2 shown]
	s_endpgm
	.section	.rodata,"a",@progbits
	.p2align	6, 0x0
	.amdhsa_kernel _Z16warp_load_kernelILj256ELj32ELj64ELN6hipcub17WarpLoadAlgorithmE1EiEvPT3_S3_
		.amdhsa_group_segment_fixed_size 0
		.amdhsa_private_segment_fixed_size 0
		.amdhsa_kernarg_size 16
		.amdhsa_user_sgpr_count 6
		.amdhsa_user_sgpr_private_segment_buffer 1
		.amdhsa_user_sgpr_dispatch_ptr 0
		.amdhsa_user_sgpr_queue_ptr 0
		.amdhsa_user_sgpr_kernarg_segment_ptr 1
		.amdhsa_user_sgpr_dispatch_id 0
		.amdhsa_user_sgpr_flat_scratch_init 0
		.amdhsa_user_sgpr_private_segment_size 0
		.amdhsa_wavefront_size32 1
		.amdhsa_uses_dynamic_stack 0
		.amdhsa_system_sgpr_private_segment_wavefront_offset 0
		.amdhsa_system_sgpr_workgroup_id_x 1
		.amdhsa_system_sgpr_workgroup_id_y 0
		.amdhsa_system_sgpr_workgroup_id_z 0
		.amdhsa_system_sgpr_workgroup_info 0
		.amdhsa_system_vgpr_workitem_id 0
		.amdhsa_next_free_vgpr 63
		.amdhsa_next_free_sgpr 7
		.amdhsa_reserve_vcc 1
		.amdhsa_reserve_flat_scratch 0
		.amdhsa_float_round_mode_32 0
		.amdhsa_float_round_mode_16_64 0
		.amdhsa_float_denorm_mode_32 3
		.amdhsa_float_denorm_mode_16_64 3
		.amdhsa_dx10_clamp 1
		.amdhsa_ieee_mode 1
		.amdhsa_fp16_overflow 0
		.amdhsa_workgroup_processor_mode 1
		.amdhsa_memory_ordered 1
		.amdhsa_forward_progress 1
		.amdhsa_shared_vgpr_count 0
		.amdhsa_exception_fp_ieee_invalid_op 0
		.amdhsa_exception_fp_denorm_src 0
		.amdhsa_exception_fp_ieee_div_zero 0
		.amdhsa_exception_fp_ieee_overflow 0
		.amdhsa_exception_fp_ieee_underflow 0
		.amdhsa_exception_fp_ieee_inexact 0
		.amdhsa_exception_int_div_zero 0
	.end_amdhsa_kernel
	.section	.text._Z16warp_load_kernelILj256ELj32ELj64ELN6hipcub17WarpLoadAlgorithmE1EiEvPT3_S3_,"axG",@progbits,_Z16warp_load_kernelILj256ELj32ELj64ELN6hipcub17WarpLoadAlgorithmE1EiEvPT3_S3_,comdat
.Lfunc_end50:
	.size	_Z16warp_load_kernelILj256ELj32ELj64ELN6hipcub17WarpLoadAlgorithmE1EiEvPT3_S3_, .Lfunc_end50-_Z16warp_load_kernelILj256ELj32ELj64ELN6hipcub17WarpLoadAlgorithmE1EiEvPT3_S3_
                                        ; -- End function
	.set _Z16warp_load_kernelILj256ELj32ELj64ELN6hipcub17WarpLoadAlgorithmE1EiEvPT3_S3_.num_vgpr, 63
	.set _Z16warp_load_kernelILj256ELj32ELj64ELN6hipcub17WarpLoadAlgorithmE1EiEvPT3_S3_.num_agpr, 0
	.set _Z16warp_load_kernelILj256ELj32ELj64ELN6hipcub17WarpLoadAlgorithmE1EiEvPT3_S3_.numbered_sgpr, 7
	.set _Z16warp_load_kernelILj256ELj32ELj64ELN6hipcub17WarpLoadAlgorithmE1EiEvPT3_S3_.num_named_barrier, 0
	.set _Z16warp_load_kernelILj256ELj32ELj64ELN6hipcub17WarpLoadAlgorithmE1EiEvPT3_S3_.private_seg_size, 0
	.set _Z16warp_load_kernelILj256ELj32ELj64ELN6hipcub17WarpLoadAlgorithmE1EiEvPT3_S3_.uses_vcc, 1
	.set _Z16warp_load_kernelILj256ELj32ELj64ELN6hipcub17WarpLoadAlgorithmE1EiEvPT3_S3_.uses_flat_scratch, 0
	.set _Z16warp_load_kernelILj256ELj32ELj64ELN6hipcub17WarpLoadAlgorithmE1EiEvPT3_S3_.has_dyn_sized_stack, 0
	.set _Z16warp_load_kernelILj256ELj32ELj64ELN6hipcub17WarpLoadAlgorithmE1EiEvPT3_S3_.has_recursion, 0
	.set _Z16warp_load_kernelILj256ELj32ELj64ELN6hipcub17WarpLoadAlgorithmE1EiEvPT3_S3_.has_indirect_call, 0
	.section	.AMDGPU.csdata,"",@progbits
; Kernel info:
; codeLenInByte = 1908
; TotalNumSgprs: 9
; NumVgprs: 63
; ScratchSize: 0
; MemoryBound: 0
; FloatMode: 240
; IeeeMode: 1
; LDSByteSize: 0 bytes/workgroup (compile time only)
; SGPRBlocks: 0
; VGPRBlocks: 7
; NumSGPRsForWavesPerEU: 9
; NumVGPRsForWavesPerEU: 63
; Occupancy: 16
; WaveLimiterHint : 1
; COMPUTE_PGM_RSRC2:SCRATCH_EN: 0
; COMPUTE_PGM_RSRC2:USER_SGPR: 6
; COMPUTE_PGM_RSRC2:TRAP_HANDLER: 0
; COMPUTE_PGM_RSRC2:TGID_X_EN: 1
; COMPUTE_PGM_RSRC2:TGID_Y_EN: 0
; COMPUTE_PGM_RSRC2:TGID_Z_EN: 0
; COMPUTE_PGM_RSRC2:TIDIG_COMP_CNT: 0
	.section	.text._Z16warp_load_kernelILj256ELj32ELj64ELN6hipcub17WarpLoadAlgorithmE2EiEvPT3_S3_,"axG",@progbits,_Z16warp_load_kernelILj256ELj32ELj64ELN6hipcub17WarpLoadAlgorithmE2EiEvPT3_S3_,comdat
	.protected	_Z16warp_load_kernelILj256ELj32ELj64ELN6hipcub17WarpLoadAlgorithmE2EiEvPT3_S3_ ; -- Begin function _Z16warp_load_kernelILj256ELj32ELj64ELN6hipcub17WarpLoadAlgorithmE2EiEvPT3_S3_
	.globl	_Z16warp_load_kernelILj256ELj32ELj64ELN6hipcub17WarpLoadAlgorithmE2EiEvPT3_S3_
	.p2align	8
	.type	_Z16warp_load_kernelILj256ELj32ELj64ELN6hipcub17WarpLoadAlgorithmE2EiEvPT3_S3_,@function
_Z16warp_load_kernelILj256ELj32ELj64ELN6hipcub17WarpLoadAlgorithmE2EiEvPT3_S3_: ; @_Z16warp_load_kernelILj256ELj32ELj64ELN6hipcub17WarpLoadAlgorithmE2EiEvPT3_S3_
; %bb.0:
	s_load_dwordx4 s[0:3], s[4:5], 0x0
	v_lshlrev_b32_e32 v1, 5, v0
	s_lshl_b32 s4, s6, 13
	v_mov_b32_e32 v34, 0
	v_mbcnt_lo_u32_b32 v3, -1, 0
	v_and_or_b32 v33, 0x1800, v1, s4
	v_mov_b32_e32 v36, v34
	v_lshlrev_b32_e32 v3, 7, v3
	v_mov_b32_e32 v38, v34
	v_lshlrev_b64 v[1:2], 2, v[33:34]
	v_or_b32_e32 v33, s4, v0
	v_mov_b32_e32 v39, v34
	v_mov_b32_e32 v41, v34
	;; [unrolled: 1-line block ×4, first 2 shown]
	v_or_b32_e32 v35, 0x200, v33
	v_or_b32_e32 v37, 0x300, v33
	v_lshlrev_b64 v[51:52], 2, v[33:34]
	s_waitcnt lgkmcnt(0)
	v_add_co_u32 v1, vcc_lo, s0, v1
	v_add_co_ci_u32_e64 v2, null, s1, v2, vcc_lo
	v_lshlrev_b64 v[35:36], 2, v[35:36]
	v_add_co_u32 v29, vcc_lo, v1, v3
	v_add_co_ci_u32_e64 v30, null, 0, v2, vcc_lo
	v_lshlrev_b64 v[37:38], 2, v[37:38]
	v_add_co_u32 v51, vcc_lo, s2, v51
	s_clause 0x7
	global_load_dwordx4 v[1:4], v[29:30], off
	global_load_dwordx4 v[5:8], v[29:30], off offset:16
	global_load_dwordx4 v[9:12], v[29:30], off offset:32
	;; [unrolled: 1-line block ×7, first 2 shown]
	v_add_co_ci_u32_e64 v52, null, s3, v52, vcc_lo
	v_add_co_u32 v35, vcc_lo, s2, v35
	v_add_co_ci_u32_e64 v36, null, s3, v36, vcc_lo
	v_add_co_u32 v55, vcc_lo, s2, v37
	v_add_co_ci_u32_e64 v56, null, s3, v38, vcc_lo
	v_or_b32_e32 v38, 0x400, v33
	v_or_b32_e32 v40, 0x500, v33
	;; [unrolled: 1-line block ×4, first 2 shown]
	v_mov_b32_e32 v46, v34
	v_mov_b32_e32 v48, v34
	v_lshlrev_b64 v[40:41], 2, v[40:41]
	v_lshlrev_b64 v[42:43], 2, v[42:43]
	;; [unrolled: 1-line block ×3, first 2 shown]
	v_or_b32_e32 v47, 0x900, v33
	v_mov_b32_e32 v50, v34
	v_or_b32_e32 v49, 0xa00, v33
	v_mov_b32_e32 v53, v34
	v_mov_b32_e32 v54, v34
	;; [unrolled: 1-line block ×3, first 2 shown]
	v_or_b32_e32 v0, 0xe00, v33
	v_mov_b32_e32 v58, v34
	v_or_b32_e32 v57, 0x1800, v33
	v_mov_b32_e32 v60, v34
	;; [unrolled: 2-line block ×3, first 2 shown]
	v_or_b32_e32 v61, 0x1d00, v33
	s_waitcnt vmcnt(7)
	global_store_dword v[51:52], v1, off
	global_store_dword v[51:52], v2, off offset:1024
	global_store_dword v[35:36], v3, off
	v_lshlrev_b64 v[35:36], 2, v[38:39]
	global_store_dword v[55:56], v4, off
	v_or_b32_e32 v52, 0xb00, v33
	v_mov_b32_e32 v1, v34
	v_mov_b32_e32 v3, v34
	;; [unrolled: 1-line block ×3, first 2 shown]
	v_add_co_u32 v35, vcc_lo, s2, v35
	v_add_co_ci_u32_e64 v36, null, s3, v36, vcc_lo
	v_add_co_u32 v40, vcc_lo, s2, v40
	v_add_co_ci_u32_e64 v41, null, s3, v41, vcc_lo
	;; [unrolled: 2-line block ×4, first 2 shown]
	v_or_b32_e32 v45, 0x800, v33
	s_waitcnt vmcnt(6)
	global_store_dword v[35:36], v5, off
	global_store_dword v[42:43], v7, off
	v_lshlrev_b64 v[42:43], 2, v[47:48]
	v_lshlrev_b64 v[47:48], 2, v[49:50]
	;; [unrolled: 1-line block ×4, first 2 shown]
	v_or_b32_e32 v53, 0xc00, v33
	v_or_b32_e32 v2, 0xf00, v33
	v_lshlrev_b64 v[0:1], 2, v[0:1]
	v_or_b32_e32 v38, 0x1100, v33
	v_add_co_u32 v35, vcc_lo, s2, v35
	v_add_co_ci_u32_e64 v36, null, s3, v36, vcc_lo
	v_add_co_u32 v42, vcc_lo, s2, v42
	v_add_co_ci_u32_e64 v43, null, s3, v43, vcc_lo
	;; [unrolled: 2-line block ×4, first 2 shown]
	s_waitcnt vmcnt(5)
	global_store_dword v[35:36], v9, off
	v_or_b32_e32 v36, 0xd00, v33
	v_lshlrev_b64 v[52:53], 2, v[53:54]
	global_store_dword v[49:50], v12, off
	v_or_b32_e32 v50, 0x1000, v33
	v_lshlrev_b64 v[2:3], 2, v[2:3]
	v_lshlrev_b64 v[35:36], 2, v[36:37]
	v_mov_b32_e32 v44, v34
	global_store_dword v[42:43], v10, off
	v_lshlrev_b64 v[49:50], 2, v[50:51]
	v_add_co_u32 v51, vcc_lo, s2, v52
	v_or_b32_e32 v43, 0x1200, v33
	v_add_co_ci_u32_e64 v52, null, s3, v53, vcc_lo
	v_add_co_u32 v35, vcc_lo, s2, v35
	v_mov_b32_e32 v5, v34
	global_store_dword v[47:48], v11, off
	v_mov_b32_e32 v48, v34
	v_or_b32_e32 v4, 0x1300, v33
	v_or_b32_e32 v45, 0x1700, v33
	;; [unrolled: 1-line block ×3, first 2 shown]
	v_lshlrev_b64 v[37:38], 2, v[38:39]
	v_add_co_ci_u32_e64 v36, null, s3, v36, vcc_lo
	v_add_co_u32 v0, vcc_lo, s2, v0
	global_store_dword v[40:41], v6, off
	v_mov_b32_e32 v41, v34
	v_or_b32_e32 v40, 0x1400, v33
	v_lshlrev_b64 v[42:43], 2, v[43:44]
	v_add_co_ci_u32_e64 v1, null, s3, v1, vcc_lo
	v_add_co_u32 v2, vcc_lo, s2, v2
	v_mov_b32_e32 v7, v34
	v_or_b32_e32 v6, 0x1500, v33
	v_lshlrev_b64 v[4:5], 2, v[4:5]
	v_lshlrev_b64 v[44:45], 2, v[45:46]
	;; [unrolled: 1-line block ×3, first 2 shown]
	v_add_co_ci_u32_e64 v3, null, s3, v3, vcc_lo
	v_add_co_u32 v48, vcc_lo, s2, v49
	global_store_dword v[55:56], v8, off
	v_mov_b32_e32 v56, v34
	v_or_b32_e32 v55, 0x1600, v33
	v_lshlrev_b64 v[39:40], 2, v[40:41]
	v_add_co_ci_u32_e64 v49, null, s3, v50, vcc_lo
	v_add_co_u32 v37, vcc_lo, s2, v37
	v_lshlrev_b64 v[6:7], 2, v[6:7]
	v_add_co_ci_u32_e64 v38, null, s3, v38, vcc_lo
	v_add_co_u32 v41, vcc_lo, s2, v42
	;; [unrolled: 3-line block ×3, first 2 shown]
	v_mov_b32_e32 v9, v34
	v_or_b32_e32 v8, 0x1900, v33
	v_add_co_ci_u32_e64 v5, null, s3, v5, vcc_lo
	v_add_co_u32 v39, vcc_lo, s2, v39
	v_lshlrev_b64 v[56:57], 2, v[57:58]
	v_add_co_ci_u32_e64 v40, null, s3, v40, vcc_lo
	v_add_co_u32 v6, vcc_lo, s2, v6
	v_mov_b32_e32 v11, v34
	v_or_b32_e32 v10, 0x1b00, v33
	v_lshlrev_b64 v[8:9], 2, v[8:9]
	v_add_co_ci_u32_e64 v7, null, s3, v7, vcc_lo
	v_add_co_u32 v53, vcc_lo, s2, v54
	v_lshlrev_b64 v[58:59], 2, v[59:60]
	v_add_co_ci_u32_e64 v54, null, s3, v55, vcc_lo
	v_add_co_u32 v43, vcc_lo, s2, v44
	;; [unrolled: 3-line block ×3, first 2 shown]
	v_add_co_ci_u32_e64 v56, null, s3, v57, vcc_lo
	v_add_co_u32 v8, vcc_lo, s2, v8
	v_lshlrev_b64 v[60:61], 2, v[61:62]
	v_add_co_ci_u32_e64 v9, null, s3, v9, vcc_lo
	v_add_co_u32 v57, vcc_lo, s2, v58
	v_add_co_ci_u32_e64 v58, null, s3, v59, vcc_lo
	v_add_co_u32 v10, vcc_lo, s2, v10
	;; [unrolled: 2-line block ×4, first 2 shown]
	v_add_co_ci_u32_e64 v60, null, s3, v61, vcc_lo
	v_or_b32_e32 v61, 0x1e00, v33
	v_or_b32_e32 v33, 0x1f00, v33
	v_lshlrev_b64 v[61:62], 2, v[61:62]
	v_lshlrev_b64 v[33:34], 2, v[33:34]
	v_add_co_u32 v61, vcc_lo, s2, v61
	v_add_co_ci_u32_e64 v62, null, s3, v62, vcc_lo
	v_add_co_u32 v33, vcc_lo, s2, v33
	v_add_co_ci_u32_e64 v34, null, s3, v34, vcc_lo
	s_waitcnt vmcnt(4)
	global_store_dword v[51:52], v13, off
	global_store_dword v[35:36], v14, off
	global_store_dword v[0:1], v15, off
	global_store_dword v[2:3], v16, off
	s_waitcnt vmcnt(3)
	global_store_dword v[48:49], v17, off
	global_store_dword v[37:38], v18, off
	global_store_dword v[41:42], v19, off
	global_store_dword v[4:5], v20, off
	;; [unrolled: 5-line block ×5, first 2 shown]
	s_endpgm
	.section	.rodata,"a",@progbits
	.p2align	6, 0x0
	.amdhsa_kernel _Z16warp_load_kernelILj256ELj32ELj64ELN6hipcub17WarpLoadAlgorithmE2EiEvPT3_S3_
		.amdhsa_group_segment_fixed_size 0
		.amdhsa_private_segment_fixed_size 0
		.amdhsa_kernarg_size 16
		.amdhsa_user_sgpr_count 6
		.amdhsa_user_sgpr_private_segment_buffer 1
		.amdhsa_user_sgpr_dispatch_ptr 0
		.amdhsa_user_sgpr_queue_ptr 0
		.amdhsa_user_sgpr_kernarg_segment_ptr 1
		.amdhsa_user_sgpr_dispatch_id 0
		.amdhsa_user_sgpr_flat_scratch_init 0
		.amdhsa_user_sgpr_private_segment_size 0
		.amdhsa_wavefront_size32 1
		.amdhsa_uses_dynamic_stack 0
		.amdhsa_system_sgpr_private_segment_wavefront_offset 0
		.amdhsa_system_sgpr_workgroup_id_x 1
		.amdhsa_system_sgpr_workgroup_id_y 0
		.amdhsa_system_sgpr_workgroup_id_z 0
		.amdhsa_system_sgpr_workgroup_info 0
		.amdhsa_system_vgpr_workitem_id 0
		.amdhsa_next_free_vgpr 63
		.amdhsa_next_free_sgpr 7
		.amdhsa_reserve_vcc 1
		.amdhsa_reserve_flat_scratch 0
		.amdhsa_float_round_mode_32 0
		.amdhsa_float_round_mode_16_64 0
		.amdhsa_float_denorm_mode_32 3
		.amdhsa_float_denorm_mode_16_64 3
		.amdhsa_dx10_clamp 1
		.amdhsa_ieee_mode 1
		.amdhsa_fp16_overflow 0
		.amdhsa_workgroup_processor_mode 1
		.amdhsa_memory_ordered 1
		.amdhsa_forward_progress 1
		.amdhsa_shared_vgpr_count 0
		.amdhsa_exception_fp_ieee_invalid_op 0
		.amdhsa_exception_fp_denorm_src 0
		.amdhsa_exception_fp_ieee_div_zero 0
		.amdhsa_exception_fp_ieee_overflow 0
		.amdhsa_exception_fp_ieee_underflow 0
		.amdhsa_exception_fp_ieee_inexact 0
		.amdhsa_exception_int_div_zero 0
	.end_amdhsa_kernel
	.section	.text._Z16warp_load_kernelILj256ELj32ELj64ELN6hipcub17WarpLoadAlgorithmE2EiEvPT3_S3_,"axG",@progbits,_Z16warp_load_kernelILj256ELj32ELj64ELN6hipcub17WarpLoadAlgorithmE2EiEvPT3_S3_,comdat
.Lfunc_end51:
	.size	_Z16warp_load_kernelILj256ELj32ELj64ELN6hipcub17WarpLoadAlgorithmE2EiEvPT3_S3_, .Lfunc_end51-_Z16warp_load_kernelILj256ELj32ELj64ELN6hipcub17WarpLoadAlgorithmE2EiEvPT3_S3_
                                        ; -- End function
	.set _Z16warp_load_kernelILj256ELj32ELj64ELN6hipcub17WarpLoadAlgorithmE2EiEvPT3_S3_.num_vgpr, 63
	.set _Z16warp_load_kernelILj256ELj32ELj64ELN6hipcub17WarpLoadAlgorithmE2EiEvPT3_S3_.num_agpr, 0
	.set _Z16warp_load_kernelILj256ELj32ELj64ELN6hipcub17WarpLoadAlgorithmE2EiEvPT3_S3_.numbered_sgpr, 7
	.set _Z16warp_load_kernelILj256ELj32ELj64ELN6hipcub17WarpLoadAlgorithmE2EiEvPT3_S3_.num_named_barrier, 0
	.set _Z16warp_load_kernelILj256ELj32ELj64ELN6hipcub17WarpLoadAlgorithmE2EiEvPT3_S3_.private_seg_size, 0
	.set _Z16warp_load_kernelILj256ELj32ELj64ELN6hipcub17WarpLoadAlgorithmE2EiEvPT3_S3_.uses_vcc, 1
	.set _Z16warp_load_kernelILj256ELj32ELj64ELN6hipcub17WarpLoadAlgorithmE2EiEvPT3_S3_.uses_flat_scratch, 0
	.set _Z16warp_load_kernelILj256ELj32ELj64ELN6hipcub17WarpLoadAlgorithmE2EiEvPT3_S3_.has_dyn_sized_stack, 0
	.set _Z16warp_load_kernelILj256ELj32ELj64ELN6hipcub17WarpLoadAlgorithmE2EiEvPT3_S3_.has_recursion, 0
	.set _Z16warp_load_kernelILj256ELj32ELj64ELN6hipcub17WarpLoadAlgorithmE2EiEvPT3_S3_.has_indirect_call, 0
	.section	.AMDGPU.csdata,"",@progbits
; Kernel info:
; codeLenInByte = 1540
; TotalNumSgprs: 9
; NumVgprs: 63
; ScratchSize: 0
; MemoryBound: 0
; FloatMode: 240
; IeeeMode: 1
; LDSByteSize: 0 bytes/workgroup (compile time only)
; SGPRBlocks: 0
; VGPRBlocks: 7
; NumSGPRsForWavesPerEU: 9
; NumVGPRsForWavesPerEU: 63
; Occupancy: 16
; WaveLimiterHint : 1
; COMPUTE_PGM_RSRC2:SCRATCH_EN: 0
; COMPUTE_PGM_RSRC2:USER_SGPR: 6
; COMPUTE_PGM_RSRC2:TRAP_HANDLER: 0
; COMPUTE_PGM_RSRC2:TGID_X_EN: 1
; COMPUTE_PGM_RSRC2:TGID_Y_EN: 0
; COMPUTE_PGM_RSRC2:TGID_Z_EN: 0
; COMPUTE_PGM_RSRC2:TIDIG_COMP_CNT: 0
	.section	.text._Z16warp_load_kernelILj256ELj32ELj64ELN6hipcub17WarpLoadAlgorithmE3EiEvPT3_S3_,"axG",@progbits,_Z16warp_load_kernelILj256ELj32ELj64ELN6hipcub17WarpLoadAlgorithmE3EiEvPT3_S3_,comdat
	.protected	_Z16warp_load_kernelILj256ELj32ELj64ELN6hipcub17WarpLoadAlgorithmE3EiEvPT3_S3_ ; -- Begin function _Z16warp_load_kernelILj256ELj32ELj64ELN6hipcub17WarpLoadAlgorithmE3EiEvPT3_S3_
	.globl	_Z16warp_load_kernelILj256ELj32ELj64ELN6hipcub17WarpLoadAlgorithmE3EiEvPT3_S3_
	.p2align	8
	.type	_Z16warp_load_kernelILj256ELj32ELj64ELN6hipcub17WarpLoadAlgorithmE3EiEvPT3_S3_,@function
_Z16warp_load_kernelILj256ELj32ELj64ELN6hipcub17WarpLoadAlgorithmE3EiEvPT3_S3_: ; @_Z16warp_load_kernelILj256ELj32ELj64ELN6hipcub17WarpLoadAlgorithmE3EiEvPT3_S3_
; %bb.0:
	s_load_dwordx4 s[0:3], s[4:5], 0x0
	v_lshrrev_b32_e32 v11, 6, v0
	s_lshl_b32 s4, s6, 13
	v_mov_b32_e32 v2, 0
	v_mbcnt_lo_u32_b32 v13, -1, 0
	v_lshl_or_b32 v1, v11, 11, s4
	v_mov_b32_e32 v12, v2
	v_lshlrev_b32_e32 v15, 2, v13
	v_mov_b32_e32 v14, v2
	v_lshlrev_b64 v[3:4], 2, v[1:2]
	v_mov_b32_e32 v16, v2
	v_mov_b32_e32 v18, v2
	;; [unrolled: 1-line block ×8, first 2 shown]
	s_waitcnt lgkmcnt(0)
	v_add_co_u32 v1, vcc_lo, s0, v3
	v_add_co_ci_u32_e64 v4, null, s1, v4, vcc_lo
	v_mov_b32_e32 v32, v2
	v_add_co_u32 v3, vcc_lo, v1, v15
	v_add_co_ci_u32_e64 v4, null, 0, v4, vcc_lo
	v_or_b32_e32 v1, s4, v0
	v_add_co_u32 v5, vcc_lo, 0x800, v3
	v_add_co_ci_u32_e64 v6, null, 0, v4, vcc_lo
	v_add_co_u32 v7, vcc_lo, v3, 0x1000
	v_add_co_ci_u32_e64 v8, null, 0, v4, vcc_lo
	;; [unrolled: 2-line block ×3, first 2 shown]
	s_clause 0x7
	global_load_dword v95, v[3:4], off
	global_load_dword v96, v[3:4], off offset:256
	global_load_dword v97, v[3:4], off offset:512
	;; [unrolled: 1-line block ×7, first 2 shown]
	v_add_co_u32 v3, vcc_lo, 0x1800, v3
	s_clause 0x9
	global_load_dword v103, v[7:8], off offset:-2048
	global_load_dword v104, v[7:8], off
	global_load_dword v105, v[5:6], off offset:256
	global_load_dword v106, v[5:6], off offset:512
	;; [unrolled: 1-line block ×8, first 2 shown]
	v_add_co_ci_u32_e64 v4, null, 0, v4, vcc_lo
	s_clause 0xd
	global_load_dword v113, v[9:10], off offset:512
	global_load_dword v114, v[9:10], off offset:768
	;; [unrolled: 1-line block ×6, first 2 shown]
	global_load_dword v119, v[3:4], off
	global_load_dword v120, v[3:4], off offset:256
	global_load_dword v121, v[3:4], off offset:512
	;; [unrolled: 1-line block ×7, first 2 shown]
	v_lshlrev_b32_e32 v3, 13, v11
	v_mov_b32_e32 v4, v2
	v_mov_b32_e32 v6, v2
	v_or_b32_e32 v5, 0x300, v1
	v_lshlrev_b64 v[61:62], 2, v[1:2]
	v_or_b32_e32 v0, v3, v15
	v_lshl_or_b32 v127, v13, 7, v3
	v_or_b32_e32 v3, 0x200, v1
	v_mov_b32_e32 v8, v2
	v_or_b32_e32 v7, 0x400, v1
	v_mov_b32_e32 v10, v2
	v_or_b32_e32 v9, 0x500, v1
	v_lshlrev_b64 v[3:4], 2, v[3:4]
	v_lshlrev_b64 v[5:6], 2, v[5:6]
	v_or_b32_e32 v11, 0x600, v1
	v_lshlrev_b64 v[7:8], 2, v[7:8]
	v_add_co_u32 v61, vcc_lo, s2, v61
	v_or_b32_e32 v13, 0x700, v1
	v_lshlrev_b64 v[9:10], 2, v[9:10]
	v_add_co_ci_u32_e64 v62, null, s3, v62, vcc_lo
	v_add_co_u32 v65, vcc_lo, s2, v3
	v_or_b32_e32 v15, 0x800, v1
	v_lshlrev_b64 v[11:12], 2, v[11:12]
	v_add_co_ci_u32_e64 v66, null, s3, v4, vcc_lo
	;; [unrolled: 4-line block ×10, first 2 shown]
	v_add_co_u32 v83, vcc_lo, s2, v21
	v_mov_b32_e32 v34, v2
	v_or_b32_e32 v33, 0x1100, v1
	v_lshlrev_b64 v[29:30], 2, v[29:30]
	v_add_co_ci_u32_e64 v84, null, s3, v22, vcc_lo
	v_add_co_u32 v85, vcc_lo, s2, v23
	v_mov_b32_e32 v36, v2
	v_or_b32_e32 v35, 0x1200, v1
	v_lshlrev_b64 v[31:32], 2, v[31:32]
	v_add_co_ci_u32_e64 v86, null, s3, v24, vcc_lo
	;; [unrolled: 5-line block ×8, first 2 shown]
	v_add_co_u32 v36, vcc_lo, s2, v37
	v_mov_b32_e32 v50, v2
	v_or_b32_e32 v49, 0x1900, v1
	v_or_b32_e32 v51, 0x1a00, v1
	;; [unrolled: 1-line block ×7, first 2 shown]
	v_lshlrev_b64 v[45:46], 2, v[45:46]
	v_add_co_ci_u32_e64 v37, null, s3, v38, vcc_lo
	v_add_co_u32 v38, vcc_lo, s2, v39
	v_mov_b32_e32 v52, v2
	v_lshlrev_b64 v[47:48], 2, v[47:48]
	v_add_co_ci_u32_e64 v39, null, s3, v40, vcc_lo
	v_add_co_u32 v40, vcc_lo, s2, v41
	v_mov_b32_e32 v54, v2
	v_mov_b32_e32 v56, v2
	;; [unrolled: 1-line block ×4, first 2 shown]
	v_lshlrev_b64 v[49:50], 2, v[49:50]
	v_lshlrev_b64 v[63:64], 2, v[1:2]
	v_add_co_ci_u32_e64 v41, null, s3, v42, vcc_lo
	v_add_co_u32 v42, vcc_lo, s2, v43
	v_lshlrev_b64 v[51:52], 2, v[51:52]
	v_add_co_ci_u32_e64 v43, null, s3, v44, vcc_lo
	v_add_co_u32 v44, vcc_lo, s2, v45
	;; [unrolled: 3-line block ×6, first 2 shown]
	v_add_co_ci_u32_e64 v53, null, s3, v54, vcc_lo
	v_add_co_u32 v54, vcc_lo, s2, v55
	v_add_co_ci_u32_e64 v55, null, s3, v56, vcc_lo
	v_add_co_u32 v56, vcc_lo, s2, v57
	;; [unrolled: 2-line block ×4, first 2 shown]
	v_add_co_ci_u32_e64 v64, null, s3, v64, vcc_lo
	s_waitcnt vmcnt(30)
	ds_write2st64_b32 v0, v95, v96 offset1:1
	s_waitcnt vmcnt(28)
	ds_write2st64_b32 v0, v97, v98 offset0:2 offset1:3
	s_waitcnt vmcnt(26)
	ds_write2st64_b32 v0, v99, v100 offset0:4 offset1:5
	;; [unrolled: 2-line block ×15, first 2 shown]
	; wave barrier
	ds_read_b128 v[0:3], v127
	ds_read_b128 v[4:7], v127 offset:16
	ds_read_b128 v[8:11], v127 offset:32
	ds_read_b128 v[12:15], v127 offset:48
	ds_read_b128 v[16:19], v127 offset:64
	ds_read_b128 v[20:23], v127 offset:80
	ds_read_b128 v[24:27], v127 offset:96
	ds_read_b128 v[28:31], v127 offset:112
	s_waitcnt lgkmcnt(7)
	global_store_dword v[61:62], v0, off
	global_store_dword v[61:62], v1, off offset:1024
	global_store_dword v[65:66], v2, off
	global_store_dword v[67:68], v3, off
	s_waitcnt lgkmcnt(6)
	global_store_dword v[69:70], v4, off
	global_store_dword v[71:72], v5, off
	global_store_dword v[73:74], v6, off
	global_store_dword v[75:76], v7, off
	s_waitcnt lgkmcnt(5)
	global_store_dword v[77:78], v8, off
	global_store_dword v[79:80], v9, off
	;; [unrolled: 5-line block ×7, first 2 shown]
	global_store_dword v[58:59], v30, off
	global_store_dword v[63:64], v31, off
	s_endpgm
	.section	.rodata,"a",@progbits
	.p2align	6, 0x0
	.amdhsa_kernel _Z16warp_load_kernelILj256ELj32ELj64ELN6hipcub17WarpLoadAlgorithmE3EiEvPT3_S3_
		.amdhsa_group_segment_fixed_size 32768
		.amdhsa_private_segment_fixed_size 0
		.amdhsa_kernarg_size 16
		.amdhsa_user_sgpr_count 6
		.amdhsa_user_sgpr_private_segment_buffer 1
		.amdhsa_user_sgpr_dispatch_ptr 0
		.amdhsa_user_sgpr_queue_ptr 0
		.amdhsa_user_sgpr_kernarg_segment_ptr 1
		.amdhsa_user_sgpr_dispatch_id 0
		.amdhsa_user_sgpr_flat_scratch_init 0
		.amdhsa_user_sgpr_private_segment_size 0
		.amdhsa_wavefront_size32 1
		.amdhsa_uses_dynamic_stack 0
		.amdhsa_system_sgpr_private_segment_wavefront_offset 0
		.amdhsa_system_sgpr_workgroup_id_x 1
		.amdhsa_system_sgpr_workgroup_id_y 0
		.amdhsa_system_sgpr_workgroup_id_z 0
		.amdhsa_system_sgpr_workgroup_info 0
		.amdhsa_system_vgpr_workitem_id 0
		.amdhsa_next_free_vgpr 128
		.amdhsa_next_free_sgpr 7
		.amdhsa_reserve_vcc 1
		.amdhsa_reserve_flat_scratch 0
		.amdhsa_float_round_mode_32 0
		.amdhsa_float_round_mode_16_64 0
		.amdhsa_float_denorm_mode_32 3
		.amdhsa_float_denorm_mode_16_64 3
		.amdhsa_dx10_clamp 1
		.amdhsa_ieee_mode 1
		.amdhsa_fp16_overflow 0
		.amdhsa_workgroup_processor_mode 1
		.amdhsa_memory_ordered 1
		.amdhsa_forward_progress 1
		.amdhsa_shared_vgpr_count 0
		.amdhsa_exception_fp_ieee_invalid_op 0
		.amdhsa_exception_fp_denorm_src 0
		.amdhsa_exception_fp_ieee_div_zero 0
		.amdhsa_exception_fp_ieee_overflow 0
		.amdhsa_exception_fp_ieee_underflow 0
		.amdhsa_exception_fp_ieee_inexact 0
		.amdhsa_exception_int_div_zero 0
	.end_amdhsa_kernel
	.section	.text._Z16warp_load_kernelILj256ELj32ELj64ELN6hipcub17WarpLoadAlgorithmE3EiEvPT3_S3_,"axG",@progbits,_Z16warp_load_kernelILj256ELj32ELj64ELN6hipcub17WarpLoadAlgorithmE3EiEvPT3_S3_,comdat
.Lfunc_end52:
	.size	_Z16warp_load_kernelILj256ELj32ELj64ELN6hipcub17WarpLoadAlgorithmE3EiEvPT3_S3_, .Lfunc_end52-_Z16warp_load_kernelILj256ELj32ELj64ELN6hipcub17WarpLoadAlgorithmE3EiEvPT3_S3_
                                        ; -- End function
	.set _Z16warp_load_kernelILj256ELj32ELj64ELN6hipcub17WarpLoadAlgorithmE3EiEvPT3_S3_.num_vgpr, 128
	.set _Z16warp_load_kernelILj256ELj32ELj64ELN6hipcub17WarpLoadAlgorithmE3EiEvPT3_S3_.num_agpr, 0
	.set _Z16warp_load_kernelILj256ELj32ELj64ELN6hipcub17WarpLoadAlgorithmE3EiEvPT3_S3_.numbered_sgpr, 7
	.set _Z16warp_load_kernelILj256ELj32ELj64ELN6hipcub17WarpLoadAlgorithmE3EiEvPT3_S3_.num_named_barrier, 0
	.set _Z16warp_load_kernelILj256ELj32ELj64ELN6hipcub17WarpLoadAlgorithmE3EiEvPT3_S3_.private_seg_size, 0
	.set _Z16warp_load_kernelILj256ELj32ELj64ELN6hipcub17WarpLoadAlgorithmE3EiEvPT3_S3_.uses_vcc, 1
	.set _Z16warp_load_kernelILj256ELj32ELj64ELN6hipcub17WarpLoadAlgorithmE3EiEvPT3_S3_.uses_flat_scratch, 0
	.set _Z16warp_load_kernelILj256ELj32ELj64ELN6hipcub17WarpLoadAlgorithmE3EiEvPT3_S3_.has_dyn_sized_stack, 0
	.set _Z16warp_load_kernelILj256ELj32ELj64ELN6hipcub17WarpLoadAlgorithmE3EiEvPT3_S3_.has_recursion, 0
	.set _Z16warp_load_kernelILj256ELj32ELj64ELN6hipcub17WarpLoadAlgorithmE3EiEvPT3_S3_.has_indirect_call, 0
	.section	.AMDGPU.csdata,"",@progbits
; Kernel info:
; codeLenInByte = 2100
; TotalNumSgprs: 9
; NumVgprs: 128
; ScratchSize: 0
; MemoryBound: 0
; FloatMode: 240
; IeeeMode: 1
; LDSByteSize: 32768 bytes/workgroup (compile time only)
; SGPRBlocks: 0
; VGPRBlocks: 15
; NumSGPRsForWavesPerEU: 9
; NumVGPRsForWavesPerEU: 128
; Occupancy: 8
; WaveLimiterHint : 1
; COMPUTE_PGM_RSRC2:SCRATCH_EN: 0
; COMPUTE_PGM_RSRC2:USER_SGPR: 6
; COMPUTE_PGM_RSRC2:TRAP_HANDLER: 0
; COMPUTE_PGM_RSRC2:TGID_X_EN: 1
; COMPUTE_PGM_RSRC2:TGID_Y_EN: 0
; COMPUTE_PGM_RSRC2:TGID_Z_EN: 0
; COMPUTE_PGM_RSRC2:TIDIG_COMP_CNT: 0
	.section	.text._Z16warp_load_kernelILj256ELj64ELj64ELN6hipcub17WarpLoadAlgorithmE0EiEvPT3_S3_,"axG",@progbits,_Z16warp_load_kernelILj256ELj64ELj64ELN6hipcub17WarpLoadAlgorithmE0EiEvPT3_S3_,comdat
	.protected	_Z16warp_load_kernelILj256ELj64ELj64ELN6hipcub17WarpLoadAlgorithmE0EiEvPT3_S3_ ; -- Begin function _Z16warp_load_kernelILj256ELj64ELj64ELN6hipcub17WarpLoadAlgorithmE0EiEvPT3_S3_
	.globl	_Z16warp_load_kernelILj256ELj64ELj64ELN6hipcub17WarpLoadAlgorithmE0EiEvPT3_S3_
	.p2align	8
	.type	_Z16warp_load_kernelILj256ELj64ELj64ELN6hipcub17WarpLoadAlgorithmE0EiEvPT3_S3_,@function
_Z16warp_load_kernelILj256ELj64ELj64ELN6hipcub17WarpLoadAlgorithmE0EiEvPT3_S3_: ; @_Z16warp_load_kernelILj256ELj64ELj64ELN6hipcub17WarpLoadAlgorithmE0EiEvPT3_S3_
; %bb.0:
	s_load_dwordx4 s[0:3], s[4:5], 0x0
	v_lshlrev_b32_e32 v1, 6, v0
	s_lshl_b32 s4, s6, 14
	v_mov_b32_e32 v49, 0
	v_mbcnt_lo_u32_b32 v3, -1, 0
	v_and_or_b32 v48, 0x3000, v1, s4
	v_mov_b32_e32 v67, v49
	v_lshlrev_b32_e32 v3, 8, v3
	v_mov_b32_e32 v69, v49
	v_lshlrev_b64 v[1:2], 2, v[48:49]
	v_or_b32_e32 v48, s4, v0
	v_mov_b32_e32 v76, v49
	v_mov_b32_e32 v78, v49
	v_or_b32_e32 v0, 0x200, v48
	v_lshlrev_b64 v[4:5], 2, v[48:49]
	v_or_b32_e32 v66, 0x400, v48
	s_waitcnt lgkmcnt(0)
	v_add_co_u32 v1, vcc_lo, s0, v1
	v_add_co_ci_u32_e64 v2, null, s1, v2, vcc_lo
	v_or_b32_e32 v68, 0x500, v48
	v_add_co_u32 v12, vcc_lo, v1, v3
	v_add_co_ci_u32_e64 v13, null, 0, v2, vcc_lo
	v_mov_b32_e32 v1, v49
	v_mov_b32_e32 v3, v49
	v_or_b32_e32 v2, 0x300, v48
	s_clause 0xb
	global_load_dwordx4 v[50:53], v[12:13], off
	global_load_dwordx4 v[54:57], v[12:13], off offset:16
	global_load_dwordx4 v[58:61], v[12:13], off offset:32
	;; [unrolled: 1-line block ×11, first 2 shown]
	v_lshlrev_b64 v[0:1], 2, v[0:1]
	v_lshlrev_b64 v[2:3], 2, v[2:3]
	v_add_co_u32 v70, vcc_lo, s2, v4
	v_add_co_ci_u32_e64 v71, null, s3, v5, vcc_lo
	v_add_co_u32 v72, vcc_lo, s2, v0
	v_add_co_ci_u32_e64 v73, null, s3, v1, vcc_lo
	;; [unrolled: 2-line block ×3, first 2 shown]
	s_clause 0x3
	global_load_dwordx4 v[0:3], v[12:13], off offset:240
	global_load_dwordx4 v[4:7], v[12:13], off offset:224
	;; [unrolled: 1-line block ×4, first 2 shown]
	v_lshlrev_b64 v[66:67], 2, v[66:67]
	v_lshlrev_b64 v[68:69], 2, v[68:69]
	v_or_b32_e32 v77, 0x2700, v48
	s_waitcnt vmcnt(15)
	global_store_dword v[70:71], v50, off
	global_store_dword v[70:71], v51, off offset:1024
	v_mov_b32_e32 v51, v49
	v_or_b32_e32 v50, 0x600, v48
	v_mov_b32_e32 v71, v49
	v_or_b32_e32 v70, 0x700, v48
	v_add_co_u32 v66, vcc_lo, s2, v66
	v_lshlrev_b64 v[50:51], 2, v[50:51]
	v_add_co_ci_u32_e64 v67, null, s3, v67, vcc_lo
	v_lshlrev_b64 v[70:71], 2, v[70:71]
	v_add_co_u32 v68, vcc_lo, s2, v68
	v_add_co_ci_u32_e64 v69, null, s3, v69, vcc_lo
	v_add_co_u32 v50, vcc_lo, s2, v50
	v_add_co_ci_u32_e64 v51, null, s3, v51, vcc_lo
	;; [unrolled: 2-line block ×3, first 2 shown]
	global_store_dword v[72:73], v52, off
	v_mov_b32_e32 v52, v49
	s_waitcnt vmcnt(14)
	global_store_dword v[50:51], v56, off
	v_or_b32_e32 v51, 0x800, v48
	v_mov_b32_e32 v72, v49
	global_store_dword v[70:71], v57, off
	v_or_b32_e32 v71, 0x900, v48
	global_store_dword v[74:75], v53, off
	v_mov_b32_e32 v74, v49
	v_or_b32_e32 v73, 0xa00, v48
	v_lshlrev_b64 v[50:51], 2, v[51:52]
	global_store_dword v[66:67], v54, off
	v_mov_b32_e32 v54, v49
	v_or_b32_e32 v53, 0xb00, v48
	global_store_dword v[68:69], v55, off
	v_lshlrev_b64 v[68:69], 2, v[71:72]
	v_lshlrev_b64 v[70:71], 2, v[73:74]
	v_add_co_u32 v50, vcc_lo, s2, v50
	v_lshlrev_b64 v[53:54], 2, v[53:54]
	v_add_co_ci_u32_e64 v51, null, s3, v51, vcc_lo
	v_add_co_u32 v68, vcc_lo, s2, v68
	v_add_co_ci_u32_e64 v69, null, s3, v69, vcc_lo
	v_add_co_u32 v70, vcc_lo, s2, v70
	;; [unrolled: 2-line block ×3, first 2 shown]
	v_mov_b32_e32 v55, v49
	v_add_co_ci_u32_e64 v73, null, s3, v54, vcc_lo
	v_or_b32_e32 v54, 0xc00, v48
	v_mov_b32_e32 v67, v49
	v_or_b32_e32 v66, 0xd00, v48
	v_mov_b32_e32 v57, v49
	v_or_b32_e32 v56, 0xe00, v48
	v_lshlrev_b64 v[54:55], 2, v[54:55]
	s_waitcnt vmcnt(13)
	global_store_dword v[50:51], v58, off
	v_lshlrev_b64 v[66:67], 2, v[66:67]
	v_or_b32_e32 v51, 0xf00, v48
	v_lshlrev_b64 v[56:57], 2, v[56:57]
	v_mov_b32_e32 v53, v49
	v_add_co_u32 v54, vcc_lo, s2, v54
	v_add_co_ci_u32_e64 v55, null, s3, v55, vcc_lo
	v_add_co_u32 v66, vcc_lo, s2, v66
	v_add_co_ci_u32_e64 v67, null, s3, v67, vcc_lo
	v_add_co_u32 v56, vcc_lo, s2, v56
	v_lshlrev_b64 v[50:51], 2, v[51:52]
	v_add_co_ci_u32_e64 v57, null, s3, v57, vcc_lo
	v_or_b32_e32 v52, 0x1000, v48
	v_mov_b32_e32 v58, v49
	global_store_dword v[68:69], v59, off
	v_add_co_u32 v50, vcc_lo, s2, v50
	s_waitcnt vmcnt(12)
	global_store_dword v[56:57], v64, off
	v_or_b32_e32 v57, 0x1100, v48
	v_mov_b32_e32 v68, v49
	v_add_co_ci_u32_e64 v51, null, s3, v51, vcc_lo
	global_store_dword v[66:67], v63, off
	v_or_b32_e32 v67, 0x1200, v48
	v_lshlrev_b64 v[52:53], 2, v[52:53]
	v_lshlrev_b64 v[56:57], 2, v[57:58]
	global_store_dword v[50:51], v65, off
	global_store_dword v[70:71], v60, off
	v_lshlrev_b64 v[65:66], 2, v[67:68]
	v_mov_b32_e32 v60, v49
	v_or_b32_e32 v59, 0x1300, v48
	v_add_co_u32 v52, vcc_lo, s2, v52
	v_add_co_ci_u32_e64 v53, null, s3, v53, vcc_lo
	v_add_co_u32 v56, vcc_lo, s2, v56
	global_store_dword v[72:73], v61, off
	v_mov_b32_e32 v61, v49
	v_lshlrev_b64 v[58:59], 2, v[59:60]
	v_add_co_ci_u32_e64 v57, null, s3, v57, vcc_lo
	v_add_co_u32 v65, vcc_lo, s2, v65
	v_or_b32_e32 v60, 0x1400, v48
	v_mov_b32_e32 v69, v49
	v_add_co_ci_u32_e64 v66, null, s3, v66, vcc_lo
	v_or_b32_e32 v68, 0x1500, v48
	v_lshlrev_b64 v[60:61], 2, v[60:61]
	v_mov_b32_e32 v71, v49
	s_waitcnt vmcnt(11)
	global_store_dword v[65:66], v46, off
	v_or_b32_e32 v70, 0x1600, v48
	v_lshlrev_b64 v[65:66], 2, v[68:69]
	global_store_dword v[54:55], v62, off
	v_mov_b32_e32 v54, v49
	v_add_co_u32 v58, vcc_lo, s2, v58
	global_store_dword v[52:53], v44, off
	v_or_b32_e32 v53, 0x1700, v48
	v_add_co_ci_u32_e64 v59, null, s3, v59, vcc_lo
	v_add_co_u32 v60, vcc_lo, s2, v60
	v_lshlrev_b64 v[68:69], 2, v[70:71]
	v_add_co_ci_u32_e64 v61, null, s3, v61, vcc_lo
	v_add_co_u32 v65, vcc_lo, s2, v65
	v_lshlrev_b64 v[52:53], 2, v[53:54]
	v_add_co_ci_u32_e64 v66, null, s3, v66, vcc_lo
	v_mov_b32_e32 v55, v49
	v_or_b32_e32 v54, 0x1800, v48
	v_add_co_u32 v68, vcc_lo, s2, v68
	v_mov_b32_e32 v62, v49
	global_store_dword v[56:57], v45, off
	global_store_dword v[58:59], v47, off
	s_waitcnt vmcnt(10)
	global_store_dword v[60:61], v40, off
	global_store_dword v[65:66], v41, off
	v_or_b32_e32 v61, 0x1900, v48
	v_add_co_ci_u32_e64 v69, null, s3, v69, vcc_lo
	v_add_co_u32 v52, vcc_lo, s2, v52
	v_mov_b32_e32 v51, v49
	v_or_b32_e32 v50, 0x1a00, v48
	v_add_co_ci_u32_e64 v53, null, s3, v53, vcc_lo
	v_lshlrev_b64 v[54:55], 2, v[54:55]
	v_mov_b32_e32 v64, v49
	v_or_b32_e32 v63, 0x1b00, v48
	v_lshlrev_b64 v[60:61], 2, v[61:62]
	v_mov_b32_e32 v67, v49
	v_or_b32_e32 v66, 0x1c00, v48
	v_lshlrev_b64 v[50:51], 2, v[50:51]
	v_mov_b32_e32 v44, v49
	global_store_dword v[52:53], v43, off
	v_or_b32_e32 v43, 0x1d00, v48
	v_lshlrev_b64 v[62:63], 2, v[63:64]
	v_add_co_u32 v54, vcc_lo, s2, v54
	v_mov_b32_e32 v57, v49
	v_or_b32_e32 v56, 0x1e00, v48
	v_lshlrev_b64 v[64:65], 2, v[66:67]
	v_add_co_ci_u32_e64 v55, null, s3, v55, vcc_lo
	v_add_co_u32 v60, vcc_lo, s2, v60
	v_mov_b32_e32 v46, v49
	v_or_b32_e32 v45, 0x1f00, v48
	global_store_dword v[68:69], v42, off
	v_lshlrev_b64 v[42:43], 2, v[43:44]
	v_add_co_ci_u32_e64 v61, null, s3, v61, vcc_lo
	v_add_co_u32 v50, vcc_lo, s2, v50
	v_mov_b32_e32 v59, v49
	v_or_b32_e32 v58, 0x2000, v48
	v_lshlrev_b64 v[56:57], 2, v[56:57]
	v_add_co_ci_u32_e64 v51, null, s3, v51, vcc_lo
	v_add_co_u32 v62, vcc_lo, s2, v62
	v_mov_b32_e32 v72, v49
	v_or_b32_e32 v71, 0x2100, v48
	;; [unrolled: 5-line block ×3, first 2 shown]
	v_lshlrev_b64 v[46:47], 2, v[58:59]
	v_add_co_ci_u32_e64 v65, null, s3, v65, vcc_lo
	v_add_co_u32 v42, vcc_lo, s2, v42
	v_or_b32_e32 v73, 0x2300, v48
	v_lshlrev_b64 v[58:59], 2, v[71:72]
	v_add_co_ci_u32_e64 v43, null, s3, v43, vcc_lo
	v_add_co_u32 v56, vcc_lo, s2, v56
	v_mov_b32_e32 v41, v49
	v_or_b32_e32 v40, 0x2400, v48
	v_lshlrev_b64 v[66:67], 2, v[69:70]
	v_add_co_ci_u32_e64 v57, null, s3, v57, vcc_lo
	v_add_co_u32 v44, vcc_lo, s2, v44
	v_or_b32_e32 v75, 0x2500, v48
	v_lshlrev_b64 v[68:69], 2, v[73:74]
	v_add_co_ci_u32_e64 v45, null, s3, v45, vcc_lo
	v_add_co_u32 v46, vcc_lo, s2, v46
	v_mov_b32_e32 v53, v49
	v_or_b32_e32 v52, 0x2600, v48
	v_lshlrev_b64 v[40:41], 2, v[40:41]
	v_add_co_ci_u32_e64 v47, null, s3, v47, vcc_lo
	v_add_co_u32 v58, vcc_lo, s2, v58
	v_lshlrev_b64 v[70:71], 2, v[75:76]
	v_add_co_ci_u32_e64 v59, null, s3, v59, vcc_lo
	v_add_co_u32 v66, vcc_lo, s2, v66
	v_add_co_ci_u32_e64 v67, null, s3, v67, vcc_lo
	v_add_co_u32 v68, vcc_lo, s2, v68
	v_mov_b32_e32 v75, v49
	v_or_b32_e32 v74, 0x2800, v48
	v_lshlrev_b64 v[52:53], 2, v[52:53]
	v_add_co_ci_u32_e64 v69, null, s3, v69, vcc_lo
	v_add_co_u32 v40, vcc_lo, s2, v40
	s_waitcnt vmcnt(9)
	global_store_dword v[54:55], v24, off
	v_mov_b32_e32 v55, v49
	v_or_b32_e32 v54, 0x2900, v48
	v_lshlrev_b64 v[72:73], 2, v[77:78]
	v_add_co_ci_u32_e64 v41, null, s3, v41, vcc_lo
	v_add_co_u32 v70, vcc_lo, s2, v70
	global_store_dword v[60:61], v25, off
	v_or_b32_e32 v24, 0x2a00, v48
	v_mov_b32_e32 v25, v49
	v_lshlrev_b64 v[74:75], 2, v[74:75]
	v_add_co_ci_u32_e64 v71, null, s3, v71, vcc_lo
	global_store_dword v[50:51], v26, off
	global_store_dword v[62:63], v27, off
	s_waitcnt vmcnt(8)
	global_store_dword v[64:65], v32, off
	global_store_dword v[42:43], v33, off
	;; [unrolled: 1-line block ×4, first 2 shown]
	s_waitcnt vmcnt(6)
	global_store_dword v[46:47], v36, off
	global_store_dword v[58:59], v37, off
	;; [unrolled: 1-line block ×6, first 2 shown]
	v_or_b32_e32 v28, 0x2b00, v48
	v_mov_b32_e32 v29, v49
	v_add_co_u32 v52, vcc_lo, s2, v52
	v_lshlrev_b64 v[26:27], 2, v[54:55]
	v_add_co_ci_u32_e64 v53, null, s3, v53, vcc_lo
	v_add_co_u32 v72, vcc_lo, s2, v72
	v_lshlrev_b64 v[24:25], 2, v[24:25]
	v_add_co_ci_u32_e64 v73, null, s3, v73, vcc_lo
	;; [unrolled: 3-line block ×3, first 2 shown]
	v_add_co_u32 v26, vcc_lo, s2, v26
	v_add_co_ci_u32_e64 v27, null, s3, v27, vcc_lo
	v_add_co_u32 v24, vcc_lo, s2, v24
	global_store_dword v[52:53], v30, off
	global_store_dword v[72:73], v31, off
	v_add_co_ci_u32_e64 v25, null, s3, v25, vcc_lo
	v_add_co_u32 v28, vcc_lo, s2, v28
	v_or_b32_e32 v30, 0x2c00, v48
	v_mov_b32_e32 v31, v49
	v_add_co_ci_u32_e64 v29, null, s3, v29, vcc_lo
	v_or_b32_e32 v32, 0x2d00, v48
	v_mov_b32_e32 v33, v49
	s_waitcnt vmcnt(4)
	global_store_dword v[74:75], v20, off
	global_store_dword v[26:27], v21, off
	;; [unrolled: 1-line block ×3, first 2 shown]
	v_lshlrev_b64 v[20:21], 2, v[30:31]
	global_store_dword v[28:29], v23, off
	v_lshlrev_b64 v[22:23], 2, v[32:33]
	v_or_b32_e32 v24, 0x2e00, v48
	v_mov_b32_e32 v25, v49
	v_or_b32_e32 v26, 0x2f00, v48
	v_add_co_u32 v20, vcc_lo, s2, v20
	v_add_co_ci_u32_e64 v21, null, s3, v21, vcc_lo
	v_add_co_u32 v22, vcc_lo, s2, v22
	v_add_co_ci_u32_e64 v23, null, s3, v23, vcc_lo
	v_mov_b32_e32 v27, v49
	v_lshlrev_b64 v[24:25], 2, v[24:25]
	v_or_b32_e32 v28, 0x3000, v48
	v_mov_b32_e32 v29, v49
	global_store_dword v[20:21], v16, off
	global_store_dword v[22:23], v17, off
	v_or_b32_e32 v22, 0x3100, v48
	v_mov_b32_e32 v23, v49
	v_lshlrev_b64 v[16:17], 2, v[26:27]
	v_lshlrev_b64 v[20:21], 2, v[28:29]
	v_add_co_u32 v24, vcc_lo, s2, v24
	v_lshlrev_b64 v[22:23], 2, v[22:23]
	v_add_co_ci_u32_e64 v25, null, s3, v25, vcc_lo
	v_add_co_u32 v16, vcc_lo, s2, v16
	v_add_co_ci_u32_e64 v17, null, s3, v17, vcc_lo
	v_add_co_u32 v20, vcc_lo, s2, v20
	global_store_dword v[24:25], v18, off
	v_add_co_ci_u32_e64 v21, null, s3, v21, vcc_lo
	v_add_co_u32 v22, vcc_lo, s2, v22
	v_or_b32_e32 v24, 0x3200, v48
	v_mov_b32_e32 v25, v49
	v_add_co_ci_u32_e64 v23, null, s3, v23, vcc_lo
	v_or_b32_e32 v26, 0x3300, v48
	global_store_dword v[16:17], v19, off
	s_waitcnt vmcnt(0)
	global_store_dword v[20:21], v12, off
	v_lshlrev_b64 v[16:17], 2, v[24:25]
	global_store_dword v[22:23], v13, off
	v_or_b32_e32 v18, 0x3400, v48
	v_lshlrev_b64 v[12:13], 2, v[26:27]
	v_mov_b32_e32 v19, v49
	v_or_b32_e32 v20, 0x3500, v48
	v_add_co_u32 v16, vcc_lo, s2, v16
	v_add_co_ci_u32_e64 v17, null, s3, v17, vcc_lo
	v_add_co_u32 v12, vcc_lo, s2, v12
	v_add_co_ci_u32_e64 v13, null, s3, v13, vcc_lo
	v_mov_b32_e32 v21, v49
	v_lshlrev_b64 v[18:19], 2, v[18:19]
	v_or_b32_e32 v22, 0x3600, v48
	v_mov_b32_e32 v23, v49
	global_store_dword v[16:17], v14, off
	global_store_dword v[12:13], v15, off
	v_or_b32_e32 v16, 0x3700, v48
	v_mov_b32_e32 v17, v49
	v_lshlrev_b64 v[12:13], 2, v[20:21]
	v_lshlrev_b64 v[14:15], 2, v[22:23]
	v_add_co_u32 v18, vcc_lo, s2, v18
	v_lshlrev_b64 v[16:17], 2, v[16:17]
	v_add_co_ci_u32_e64 v19, null, s3, v19, vcc_lo
	v_add_co_u32 v12, vcc_lo, s2, v12
	v_add_co_ci_u32_e64 v13, null, s3, v13, vcc_lo
	v_add_co_u32 v14, vcc_lo, s2, v14
	global_store_dword v[18:19], v8, off
	v_add_co_ci_u32_e64 v15, null, s3, v15, vcc_lo
	v_add_co_u32 v16, vcc_lo, s2, v16
	v_or_b32_e32 v18, 0x3800, v48
	v_mov_b32_e32 v19, v49
	v_add_co_ci_u32_e64 v17, null, s3, v17, vcc_lo
	v_or_b32_e32 v20, 0x3900, v48
	global_store_dword v[12:13], v9, off
	global_store_dword v[14:15], v10, off
	v_or_b32_e32 v12, 0x3a00, v48
	v_mov_b32_e32 v13, v49
	v_lshlrev_b64 v[8:9], 2, v[18:19]
	global_store_dword v[16:17], v11, off
	v_lshlrev_b64 v[10:11], 2, v[20:21]
	v_or_b32_e32 v14, 0x3b00, v48
	v_lshlrev_b64 v[12:13], 2, v[12:13]
	v_mov_b32_e32 v15, v49
	v_add_co_u32 v8, vcc_lo, s2, v8
	v_add_co_ci_u32_e64 v9, null, s3, v9, vcc_lo
	v_add_co_u32 v10, vcc_lo, s2, v10
	v_add_co_ci_u32_e64 v11, null, s3, v11, vcc_lo
	;; [unrolled: 2-line block ×3, first 2 shown]
	v_or_b32_e32 v16, 0x3c00, v48
	v_mov_b32_e32 v17, v49
	global_store_dword v[8:9], v4, off
	global_store_dword v[10:11], v5, off
	v_or_b32_e32 v10, 0x3d00, v48
	v_mov_b32_e32 v11, v49
	v_lshlrev_b64 v[4:5], 2, v[14:15]
	global_store_dword v[12:13], v6, off
	v_or_b32_e32 v12, 0x3e00, v48
	v_mov_b32_e32 v13, v49
	v_lshlrev_b64 v[8:9], 2, v[16:17]
	v_or_b32_e32 v48, 0x3f00, v48
	v_lshlrev_b64 v[10:11], 2, v[10:11]
	v_add_co_u32 v4, vcc_lo, s2, v4
	v_lshlrev_b64 v[12:13], 2, v[12:13]
	v_add_co_ci_u32_e64 v5, null, s3, v5, vcc_lo
	v_add_co_u32 v8, vcc_lo, s2, v8
	v_lshlrev_b64 v[14:15], 2, v[48:49]
	v_add_co_ci_u32_e64 v9, null, s3, v9, vcc_lo
	v_add_co_u32 v10, vcc_lo, s2, v10
	v_add_co_ci_u32_e64 v11, null, s3, v11, vcc_lo
	v_add_co_u32 v12, vcc_lo, s2, v12
	;; [unrolled: 2-line block ×3, first 2 shown]
	v_add_co_ci_u32_e64 v15, null, s3, v15, vcc_lo
	global_store_dword v[4:5], v7, off
	global_store_dword v[8:9], v0, off
	;; [unrolled: 1-line block ×5, first 2 shown]
	s_endpgm
	.section	.rodata,"a",@progbits
	.p2align	6, 0x0
	.amdhsa_kernel _Z16warp_load_kernelILj256ELj64ELj64ELN6hipcub17WarpLoadAlgorithmE0EiEvPT3_S3_
		.amdhsa_group_segment_fixed_size 0
		.amdhsa_private_segment_fixed_size 0
		.amdhsa_kernarg_size 16
		.amdhsa_user_sgpr_count 6
		.amdhsa_user_sgpr_private_segment_buffer 1
		.amdhsa_user_sgpr_dispatch_ptr 0
		.amdhsa_user_sgpr_queue_ptr 0
		.amdhsa_user_sgpr_kernarg_segment_ptr 1
		.amdhsa_user_sgpr_dispatch_id 0
		.amdhsa_user_sgpr_flat_scratch_init 0
		.amdhsa_user_sgpr_private_segment_size 0
		.amdhsa_wavefront_size32 1
		.amdhsa_uses_dynamic_stack 0
		.amdhsa_system_sgpr_private_segment_wavefront_offset 0
		.amdhsa_system_sgpr_workgroup_id_x 1
		.amdhsa_system_sgpr_workgroup_id_y 0
		.amdhsa_system_sgpr_workgroup_id_z 0
		.amdhsa_system_sgpr_workgroup_info 0
		.amdhsa_system_vgpr_workitem_id 0
		.amdhsa_next_free_vgpr 79
		.amdhsa_next_free_sgpr 7
		.amdhsa_reserve_vcc 1
		.amdhsa_reserve_flat_scratch 0
		.amdhsa_float_round_mode_32 0
		.amdhsa_float_round_mode_16_64 0
		.amdhsa_float_denorm_mode_32 3
		.amdhsa_float_denorm_mode_16_64 3
		.amdhsa_dx10_clamp 1
		.amdhsa_ieee_mode 1
		.amdhsa_fp16_overflow 0
		.amdhsa_workgroup_processor_mode 1
		.amdhsa_memory_ordered 1
		.amdhsa_forward_progress 1
		.amdhsa_shared_vgpr_count 0
		.amdhsa_exception_fp_ieee_invalid_op 0
		.amdhsa_exception_fp_denorm_src 0
		.amdhsa_exception_fp_ieee_div_zero 0
		.amdhsa_exception_fp_ieee_overflow 0
		.amdhsa_exception_fp_ieee_underflow 0
		.amdhsa_exception_fp_ieee_inexact 0
		.amdhsa_exception_int_div_zero 0
	.end_amdhsa_kernel
	.section	.text._Z16warp_load_kernelILj256ELj64ELj64ELN6hipcub17WarpLoadAlgorithmE0EiEvPT3_S3_,"axG",@progbits,_Z16warp_load_kernelILj256ELj64ELj64ELN6hipcub17WarpLoadAlgorithmE0EiEvPT3_S3_,comdat
.Lfunc_end53:
	.size	_Z16warp_load_kernelILj256ELj64ELj64ELN6hipcub17WarpLoadAlgorithmE0EiEvPT3_S3_, .Lfunc_end53-_Z16warp_load_kernelILj256ELj64ELj64ELN6hipcub17WarpLoadAlgorithmE0EiEvPT3_S3_
                                        ; -- End function
	.set _Z16warp_load_kernelILj256ELj64ELj64ELN6hipcub17WarpLoadAlgorithmE0EiEvPT3_S3_.num_vgpr, 79
	.set _Z16warp_load_kernelILj256ELj64ELj64ELN6hipcub17WarpLoadAlgorithmE0EiEvPT3_S3_.num_agpr, 0
	.set _Z16warp_load_kernelILj256ELj64ELj64ELN6hipcub17WarpLoadAlgorithmE0EiEvPT3_S3_.numbered_sgpr, 7
	.set _Z16warp_load_kernelILj256ELj64ELj64ELN6hipcub17WarpLoadAlgorithmE0EiEvPT3_S3_.num_named_barrier, 0
	.set _Z16warp_load_kernelILj256ELj64ELj64ELN6hipcub17WarpLoadAlgorithmE0EiEvPT3_S3_.private_seg_size, 0
	.set _Z16warp_load_kernelILj256ELj64ELj64ELN6hipcub17WarpLoadAlgorithmE0EiEvPT3_S3_.uses_vcc, 1
	.set _Z16warp_load_kernelILj256ELj64ELj64ELN6hipcub17WarpLoadAlgorithmE0EiEvPT3_S3_.uses_flat_scratch, 0
	.set _Z16warp_load_kernelILj256ELj64ELj64ELN6hipcub17WarpLoadAlgorithmE0EiEvPT3_S3_.has_dyn_sized_stack, 0
	.set _Z16warp_load_kernelILj256ELj64ELj64ELN6hipcub17WarpLoadAlgorithmE0EiEvPT3_S3_.has_recursion, 0
	.set _Z16warp_load_kernelILj256ELj64ELj64ELN6hipcub17WarpLoadAlgorithmE0EiEvPT3_S3_.has_indirect_call, 0
	.section	.AMDGPU.csdata,"",@progbits
; Kernel info:
; codeLenInByte = 3024
; TotalNumSgprs: 9
; NumVgprs: 79
; ScratchSize: 0
; MemoryBound: 0
; FloatMode: 240
; IeeeMode: 1
; LDSByteSize: 0 bytes/workgroup (compile time only)
; SGPRBlocks: 0
; VGPRBlocks: 9
; NumSGPRsForWavesPerEU: 9
; NumVGPRsForWavesPerEU: 79
; Occupancy: 12
; WaveLimiterHint : 1
; COMPUTE_PGM_RSRC2:SCRATCH_EN: 0
; COMPUTE_PGM_RSRC2:USER_SGPR: 6
; COMPUTE_PGM_RSRC2:TRAP_HANDLER: 0
; COMPUTE_PGM_RSRC2:TGID_X_EN: 1
; COMPUTE_PGM_RSRC2:TGID_Y_EN: 0
; COMPUTE_PGM_RSRC2:TGID_Z_EN: 0
; COMPUTE_PGM_RSRC2:TIDIG_COMP_CNT: 0
	.section	.text._Z16warp_load_kernelILj256ELj64ELj64ELN6hipcub17WarpLoadAlgorithmE1EiEvPT3_S3_,"axG",@progbits,_Z16warp_load_kernelILj256ELj64ELj64ELN6hipcub17WarpLoadAlgorithmE1EiEvPT3_S3_,comdat
	.protected	_Z16warp_load_kernelILj256ELj64ELj64ELN6hipcub17WarpLoadAlgorithmE1EiEvPT3_S3_ ; -- Begin function _Z16warp_load_kernelILj256ELj64ELj64ELN6hipcub17WarpLoadAlgorithmE1EiEvPT3_S3_
	.globl	_Z16warp_load_kernelILj256ELj64ELj64ELN6hipcub17WarpLoadAlgorithmE1EiEvPT3_S3_
	.p2align	8
	.type	_Z16warp_load_kernelILj256ELj64ELj64ELN6hipcub17WarpLoadAlgorithmE1EiEvPT3_S3_,@function
_Z16warp_load_kernelILj256ELj64ELj64ELN6hipcub17WarpLoadAlgorithmE1EiEvPT3_S3_: ; @_Z16warp_load_kernelILj256ELj64ELj64ELN6hipcub17WarpLoadAlgorithmE1EiEvPT3_S3_
; %bb.0:
	s_load_dwordx4 s[0:3], s[4:5], 0x0
	v_lshlrev_b32_e32 v1, 6, v0
	s_lshl_b32 s4, s6, 14
	v_mov_b32_e32 v2, 0
	v_mbcnt_lo_u32_b32 v5, -1, 0
	v_and_or_b32 v1, 0x3000, v1, s4
	v_mov_b32_e32 v58, v2
	v_mov_b32_e32 v60, v2
	v_mov_b32_e32 v62, v2
	v_lshlrev_b64 v[3:4], 2, v[1:2]
	v_lshlrev_b32_e32 v1, 2, v5
	v_mov_b32_e32 v78, v2
	s_waitcnt lgkmcnt(0)
	v_add_co_u32 v3, vcc_lo, s0, v3
	v_add_co_ci_u32_e64 v4, null, s1, v4, vcc_lo
	v_add_co_u32 v3, vcc_lo, v3, v1
	v_add_co_ci_u32_e64 v4, null, 0, v4, vcc_lo
	v_or_b32_e32 v1, s4, v0
	v_add_co_u32 v5, vcc_lo, v3, 0x1000
	s_clause 0x7
	global_load_dword v61, v[3:4], off
	global_load_dword v69, v[3:4], off offset:256
	global_load_dword v70, v[3:4], off offset:512
	;; [unrolled: 1-line block ×7, first 2 shown]
	v_add_co_ci_u32_e64 v6, null, 0, v4, vcc_lo
	v_add_co_u32 v7, vcc_lo, 0x800, v3
	v_add_co_ci_u32_e64 v8, null, 0, v4, vcc_lo
	s_clause 0x6
	global_load_dword v76, v[5:6], off offset:-2048
	global_load_dword v56, v[7:8], off offset:256
	global_load_dword v54, v[7:8], off offset:512
	;; [unrolled: 1-line block ×6, first 2 shown]
	v_add_co_u32 v9, vcc_lo, 0x1000, v3
	v_add_co_ci_u32_e64 v10, null, 0, v4, vcc_lo
	s_clause 0x2
	global_load_dword v52, v[7:8], off offset:1792
	global_load_dword v51, v[5:6], off
	global_load_dword v48, v[9:10], off offset:256
	v_add_co_u32 v5, vcc_lo, 0x1800, v3
	v_add_co_ci_u32_e64 v6, null, 0, v4, vcc_lo
	v_add_co_u32 v7, vcc_lo, v3, 0x2000
	v_add_co_ci_u32_e64 v8, null, 0, v4, vcc_lo
	s_clause 0xd
	global_load_dword v31, v[9:10], off offset:512
	global_load_dword v32, v[9:10], off offset:768
	;; [unrolled: 1-line block ×6, first 2 shown]
	global_load_dword v42, v[7:8], off offset:-2048
	global_load_dword v43, v[5:6], off offset:256
	global_load_dword v44, v[5:6], off offset:512
	;; [unrolled: 1-line block ×7, first 2 shown]
	v_add_co_u32 v5, vcc_lo, 0x2000, v3
	v_add_co_ci_u32_e64 v6, null, 0, v4, vcc_lo
	s_clause 0x4
	global_load_dword v40, v[7:8], off
	global_load_dword v41, v[5:6], off offset:256
	global_load_dword v47, v[5:6], off offset:512
	global_load_dword v37, v[5:6], off offset:768
	global_load_dword v38, v[5:6], off offset:1024
	v_lshlrev_b64 v[9:10], 2, v[1:2]
	v_or_b32_e32 v57, 0x200, v1
	v_or_b32_e32 v59, 0x300, v1
	v_or_b32_e32 v77, 0x1f00, v1
	v_add_co_u32 v63, vcc_lo, s2, v9
	v_add_co_ci_u32_e64 v64, null, s3, v10, vcc_lo
	v_add_co_u32 v7, vcc_lo, 0x2800, v3
	v_add_co_ci_u32_e64 v8, null, 0, v4, vcc_lo
	;; [unrolled: 2-line block ×5, first 2 shown]
	s_clause 0x1a
	global_load_dword v39, v[5:6], off offset:1280
	global_load_dword v25, v[5:6], off offset:1536
	;; [unrolled: 1-line block ×17, first 2 shown]
	global_load_dword v8, v[67:68], off
	global_load_dword v9, v[67:68], off offset:256
	global_load_dword v7, v[67:68], off offset:512
	;; [unrolled: 1-line block ×5, first 2 shown]
	global_load_dword v27, v[65:66], off offset:-2048
	global_load_dword v18, v[65:66], off
	global_load_dword v6, v[67:68], off offset:1536
	global_load_dword v5, v[67:68], off offset:1792
	v_lshlrev_b64 v[57:58], 2, v[57:58]
	v_mov_b32_e32 v65, v2
	v_lshlrev_b64 v[59:60], 2, v[59:60]
	v_mov_b32_e32 v66, v2
	v_lshlrev_b64 v[77:78], 2, v[77:78]
	s_waitcnt vmcnt(62)
	global_store_dword v[63:64], v61, off
	global_store_dword v[63:64], v69, off offset:1024
	v_or_b32_e32 v61, 0x400, v1
	v_or_b32_e32 v64, 0x500, v1
	v_add_co_u32 v57, vcc_lo, s2, v57
	v_mov_b32_e32 v63, v2
	v_lshlrev_b64 v[67:68], 2, v[61:62]
	v_lshlrev_b64 v[64:65], 2, v[64:65]
	v_or_b32_e32 v62, 0x600, v1
	v_add_co_ci_u32_e64 v58, null, s3, v58, vcc_lo
	v_add_co_u32 v59, vcc_lo, s2, v59
	v_add_co_ci_u32_e64 v60, null, s3, v60, vcc_lo
	v_add_co_u32 v67, vcc_lo, s2, v67
	;; [unrolled: 2-line block ×3, first 2 shown]
	v_lshlrev_b64 v[62:63], 2, v[62:63]
	s_waitcnt vmcnt(61)
	global_store_dword v[57:58], v70, off
	v_add_co_ci_u32_e64 v70, null, s3, v65, vcc_lo
	v_or_b32_e32 v65, 0x700, v1
	v_mov_b32_e32 v58, v2
	v_or_b32_e32 v57, 0x800, v1
	s_waitcnt vmcnt(60)
	global_store_dword v[59:60], v71, off
	v_mov_b32_e32 v60, v2
	v_add_co_u32 v62, vcc_lo, s2, v62
	v_or_b32_e32 v59, 0x900, v1
	v_lshlrev_b64 v[65:66], 2, v[65:66]
	v_add_co_ci_u32_e64 v63, null, s3, v63, vcc_lo
	v_lshlrev_b64 v[57:58], 2, v[57:58]
	v_lshlrev_b64 v[59:60], 2, v[59:60]
	v_mov_b32_e32 v64, v2
	v_add_co_u32 v65, vcc_lo, s2, v65
	s_waitcnt vmcnt(57)
	global_store_dword v[62:63], v74, off
	v_or_b32_e32 v63, 0xa00, v1
	v_add_co_ci_u32_e64 v66, null, s3, v66, vcc_lo
	v_add_co_u32 v57, vcc_lo, s2, v57
	global_store_dword v[69:70], v73, off
	v_add_co_ci_u32_e64 v58, null, s3, v58, vcc_lo
	v_add_co_u32 v70, vcc_lo, s2, v59
	v_lshlrev_b64 v[63:64], 2, v[63:64]
	v_mov_b32_e32 v61, v2
	v_add_co_ci_u32_e64 v71, null, s3, v60, vcc_lo
	v_or_b32_e32 v60, 0xb00, v1
	global_store_dword v[67:68], v72, off
	v_mov_b32_e32 v67, v2
	s_waitcnt vmcnt(56)
	global_store_dword v[65:66], v75, off
	v_or_b32_e32 v66, 0xc00, v1
	v_lshlrev_b64 v[60:61], 2, v[60:61]
	v_add_co_u32 v63, vcc_lo, s2, v63
	v_mov_b32_e32 v69, v2
	v_add_co_ci_u32_e64 v64, null, s3, v64, vcc_lo
	v_or_b32_e32 v68, 0xd00, v1
	v_lshlrev_b64 v[66:67], 2, v[66:67]
	v_add_co_u32 v60, vcc_lo, s2, v60
	s_waitcnt vmcnt(53)
	global_store_dword v[63:64], v54, off
	v_lshlrev_b64 v[63:64], 2, v[68:69]
	v_add_co_ci_u32_e64 v61, null, s3, v61, vcc_lo
	v_add_co_u32 v66, vcc_lo, s2, v66
	v_mov_b32_e32 v62, v2
	s_waitcnt vmcnt(52)
	global_store_dword v[60:61], v53, off
	v_add_co_ci_u32_e64 v67, null, s3, v67, vcc_lo
	v_add_co_u32 v68, vcc_lo, s2, v63
	v_or_b32_e32 v61, 0xe00, v1
	v_mov_b32_e32 v65, v2
	v_add_co_ci_u32_e64 v69, null, s3, v64, vcc_lo
	v_or_b32_e32 v64, 0xf00, v1
	v_mov_b32_e32 v59, v2
	global_store_dword v[57:58], v76, off
	v_or_b32_e32 v58, 0x1000, v1
	v_lshlrev_b64 v[61:62], 2, v[61:62]
	v_mov_b32_e32 v57, v2
	global_store_dword v[70:71], v56, off
	v_or_b32_e32 v56, 0x1100, v1
	v_lshlrev_b64 v[64:65], 2, v[64:65]
	v_lshlrev_b64 v[58:59], 2, v[58:59]
	s_waitcnt vmcnt(50)
	global_store_dword v[68:69], v55, off
	v_add_co_u32 v61, vcc_lo, s2, v61
	v_lshlrev_b64 v[55:56], 2, v[56:57]
	v_add_co_ci_u32_e64 v62, null, s3, v62, vcc_lo
	v_add_co_u32 v64, vcc_lo, s2, v64
	v_mov_b32_e32 v70, v2
	v_or_b32_e32 v69, 0x1200, v1
	v_add_co_ci_u32_e64 v65, null, s3, v65, vcc_lo
	v_add_co_u32 v57, vcc_lo, s2, v58
	v_mov_b32_e32 v72, v2
	v_or_b32_e32 v71, 0x1300, v1
	;; [unrolled: 4-line block ×3, first 2 shown]
	v_add_co_ci_u32_e64 v56, null, s3, v56, vcc_lo
	v_lshlrev_b64 v[69:70], 2, v[69:70]
	v_mov_b32_e32 v60, v2
	v_mov_b32_e32 v63, v2
	global_store_dword v[66:67], v49, off
	v_mov_b32_e32 v66, v2
	v_mov_b32_e32 v68, v2
	s_waitcnt vmcnt(49)
	global_store_dword v[61:62], v50, off
	s_waitcnt vmcnt(48)
	global_store_dword v[64:65], v52, off
	v_or_b32_e32 v59, 0x1500, v1
	v_or_b32_e32 v62, 0x1600, v1
	;; [unrolled: 1-line block ×4, first 2 shown]
	v_lshlrev_b64 v[71:72], 2, v[71:72]
	v_lshlrev_b64 v[53:54], 2, v[53:54]
	v_mov_b32_e32 v49, v2
	s_waitcnt vmcnt(46)
	global_store_dword v[55:56], v48, off
	v_or_b32_e32 v48, 0x1700, v1
	global_store_dword v[57:58], v51, off
	v_lshlrev_b64 v[58:59], 2, v[59:60]
	v_lshlrev_b64 v[60:61], 2, v[62:63]
	;; [unrolled: 1-line block ×4, first 2 shown]
	v_add_co_u32 v68, vcc_lo, s2, v69
	v_mov_b32_e32 v57, v2
	v_or_b32_e32 v56, 0x1d00, v1
	v_add_co_ci_u32_e64 v69, null, s3, v70, vcc_lo
	v_add_co_u32 v70, vcc_lo, s2, v71
	v_lshlrev_b64 v[48:49], 2, v[48:49]
	v_add_co_ci_u32_e64 v71, null, s3, v72, vcc_lo
	v_add_co_u32 v53, vcc_lo, s2, v53
	v_mov_b32_e32 v74, v2
	v_mov_b32_e32 v76, v2
	v_or_b32_e32 v73, 0x1a00, v1
	v_or_b32_e32 v75, 0x1c00, v1
	v_lshlrev_b64 v[55:56], 2, v[56:57]
	v_add_co_ci_u32_e64 v54, null, s3, v54, vcc_lo
	v_add_co_u32 v57, vcc_lo, s2, v58
	v_mov_b32_e32 v52, v2
	v_or_b32_e32 v51, 0x1b00, v1
	v_add_co_ci_u32_e64 v58, null, s3, v59, vcc_lo
	v_add_co_u32 v59, vcc_lo, s2, v60
	v_lshlrev_b64 v[66:67], 2, v[73:74]
	v_lshlrev_b64 v[73:74], 2, v[75:76]
	v_add_co_ci_u32_e64 v60, null, s3, v61, vcc_lo
	v_add_co_u32 v75, vcc_lo, s2, v48
	v_lshlrev_b64 v[51:52], 2, v[51:52]
	v_add_co_ci_u32_e64 v76, null, s3, v49, vcc_lo
	v_add_co_u32 v61, vcc_lo, s2, v62
	v_mov_b32_e32 v50, v2
	v_or_b32_e32 v49, 0x1e00, v1
	v_add_co_ci_u32_e64 v62, null, s3, v63, vcc_lo
	v_add_co_u32 v63, vcc_lo, s2, v64
	v_add_co_ci_u32_e64 v64, null, s3, v65, vcc_lo
	v_add_co_u32 v65, vcc_lo, s2, v66
	;; [unrolled: 2-line block ×3, first 2 shown]
	v_lshlrev_b64 v[48:49], 2, v[49:50]
	v_add_co_ci_u32_e64 v52, null, s3, v52, vcc_lo
	v_add_co_u32 v72, vcc_lo, s2, v73
	v_add_co_ci_u32_e64 v73, null, s3, v74, vcc_lo
	v_add_co_u32 v55, vcc_lo, s2, v55
	v_add_co_ci_u32_e64 v56, null, s3, v56, vcc_lo
	s_waitcnt vmcnt(45)
	global_store_dword v[68:69], v31, off
	s_waitcnt vmcnt(44)
	global_store_dword v[70:71], v32, off
	;; [unrolled: 2-line block ×11, first 2 shown]
	v_add_co_u32 v31, vcc_lo, s2, v48
	v_add_co_ci_u32_e64 v32, null, s3, v49, vcc_lo
	v_add_co_u32 v33, vcc_lo, s2, v77
	v_add_co_ci_u32_e64 v34, null, s3, v78, vcc_lo
	v_or_b32_e32 v35, 0x2000, v1
	v_mov_b32_e32 v36, v2
	v_or_b32_e32 v42, 0x2100, v1
	v_mov_b32_e32 v43, v2
	s_waitcnt vmcnt(34)
	global_store_dword v[55:56], v29, off
	s_waitcnt vmcnt(33)
	global_store_dword v[31:32], v30, off
	;; [unrolled: 2-line block ×3, first 2 shown]
	v_or_b32_e32 v33, 0x2200, v1
	v_mov_b32_e32 v34, v2
	v_lshlrev_b64 v[29:30], 2, v[35:36]
	v_lshlrev_b64 v[31:32], 2, v[42:43]
	v_mov_b32_e32 v35, v2
	v_or_b32_e32 v42, 0x2400, v1
	v_lshlrev_b64 v[33:34], 2, v[33:34]
	v_or_b32_e32 v36, 0x2a00, v1
	v_add_co_u32 v28, vcc_lo, s2, v29
	v_add_co_ci_u32_e64 v29, null, s3, v30, vcc_lo
	v_add_co_u32 v30, vcc_lo, s2, v31
	v_add_co_ci_u32_e64 v31, null, s3, v32, vcc_lo
	;; [unrolled: 2-line block ×3, first 2 shown]
	v_or_b32_e32 v34, 0x2300, v1
	s_waitcnt vmcnt(31)
	global_store_dword v[28:29], v40, off
	s_waitcnt vmcnt(30)
	global_store_dword v[30:31], v41, off
	v_lshlrev_b64 v[30:31], 2, v[42:43]
	s_waitcnt vmcnt(29)
	global_store_dword v[32:33], v47, off
	v_or_b32_e32 v32, 0x2500, v1
	v_mov_b32_e32 v33, v2
	v_lshlrev_b64 v[28:29], 2, v[34:35]
	v_or_b32_e32 v34, 0x2600, v1
	v_or_b32_e32 v40, 0x2700, v1
	v_mov_b32_e32 v41, v2
	v_lshlrev_b64 v[32:33], 2, v[32:33]
	v_add_co_u32 v28, vcc_lo, s2, v28
	v_add_co_ci_u32_e64 v29, null, s3, v29, vcc_lo
	v_add_co_u32 v30, vcc_lo, s2, v30
	v_add_co_ci_u32_e64 v31, null, s3, v31, vcc_lo
	;; [unrolled: 2-line block ×3, first 2 shown]
	s_waitcnt vmcnt(28)
	global_store_dword v[28:29], v37, off
	s_waitcnt vmcnt(27)
	global_store_dword v[30:31], v38, off
	v_lshlrev_b64 v[28:29], 2, v[34:35]
	v_lshlrev_b64 v[30:31], 2, v[40:41]
	s_waitcnt vmcnt(26)
	global_store_dword v[32:33], v39, off
	v_or_b32_e32 v32, 0x2800, v1
	v_mov_b32_e32 v33, v2
	v_or_b32_e32 v34, 0x2900, v1
	v_add_co_u32 v28, vcc_lo, s2, v28
	v_add_co_ci_u32_e64 v29, null, s3, v29, vcc_lo
	v_lshlrev_b64 v[32:33], 2, v[32:33]
	v_add_co_u32 v30, vcc_lo, s2, v30
	v_add_co_ci_u32_e64 v31, null, s3, v31, vcc_lo
	v_mov_b32_e32 v37, v2
	v_add_co_u32 v32, vcc_lo, s2, v32
	v_add_co_ci_u32_e64 v33, null, s3, v33, vcc_lo
	s_waitcnt vmcnt(25)
	global_store_dword v[28:29], v25, off
	s_waitcnt vmcnt(24)
	global_store_dword v[30:31], v26, off
	v_lshlrev_b64 v[25:26], 2, v[34:35]
	v_or_b32_e32 v29, 0x2b00, v1
	s_waitcnt vmcnt(3)
	global_store_dword v[32:33], v27, off
	v_lshlrev_b64 v[27:28], 2, v[36:37]
	v_mov_b32_e32 v30, v2
	v_or_b32_e32 v31, 0x2c00, v1
	v_add_co_u32 v25, vcc_lo, s2, v25
	v_add_co_ci_u32_e64 v26, null, s3, v26, vcc_lo
	v_lshlrev_b64 v[29:30], 2, v[29:30]
	v_add_co_u32 v27, vcc_lo, s2, v27
	v_add_co_ci_u32_e64 v28, null, s3, v28, vcc_lo
	v_mov_b32_e32 v32, v2
	v_or_b32_e32 v33, 0x2d00, v1
	v_mov_b32_e32 v34, v2
	v_add_co_u32 v29, vcc_lo, s2, v29
	global_store_dword v[25:26], v23, off
	global_store_dword v[27:28], v24, off
	v_or_b32_e32 v27, 0x2e00, v1
	v_mov_b32_e32 v28, v2
	v_lshlrev_b64 v[23:24], 2, v[31:32]
	v_add_co_ci_u32_e64 v30, null, s3, v30, vcc_lo
	v_lshlrev_b64 v[25:26], 2, v[33:34]
	v_lshlrev_b64 v[27:28], 2, v[27:28]
	v_mov_b32_e32 v31, v2
	global_store_dword v[29:30], v22, off
	v_add_co_u32 v22, vcc_lo, s2, v23
	v_add_co_ci_u32_e64 v23, null, s3, v24, vcc_lo
	v_add_co_u32 v24, vcc_lo, s2, v25
	v_add_co_ci_u32_e64 v25, null, s3, v26, vcc_lo
	;; [unrolled: 2-line block ×3, first 2 shown]
	v_or_b32_e32 v28, 0x2f00, v1
	v_mov_b32_e32 v29, v2
	v_or_b32_e32 v30, 0x3000, v1
	global_store_dword v[22:23], v20, off
	global_store_dword v[24:25], v21, off
	v_or_b32_e32 v24, 0x3100, v1
	v_mov_b32_e32 v25, v2
	v_lshlrev_b64 v[20:21], 2, v[28:29]
	v_lshlrev_b64 v[22:23], 2, v[30:31]
	global_store_dword v[26:27], v19, off
	v_mov_b32_e32 v26, v2
	v_lshlrev_b64 v[24:25], 2, v[24:25]
	v_or_b32_e32 v27, 0x3300, v1
	v_add_co_u32 v19, vcc_lo, s2, v20
	v_add_co_ci_u32_e64 v20, null, s3, v21, vcc_lo
	v_add_co_u32 v21, vcc_lo, s2, v22
	v_add_co_ci_u32_e64 v22, null, s3, v23, vcc_lo
	;; [unrolled: 2-line block ×3, first 2 shown]
	v_or_b32_e32 v25, 0x3200, v1
	v_mov_b32_e32 v28, v2
	global_store_dword v[19:20], v17, off
	s_waitcnt vmcnt(2)
	global_store_dword v[21:22], v18, off
	v_or_b32_e32 v21, 0x3400, v1
	v_mov_b32_e32 v22, v2
	v_lshlrev_b64 v[17:18], 2, v[25:26]
	v_lshlrev_b64 v[19:20], 2, v[27:28]
	global_store_dword v[23:24], v16, off
	v_mov_b32_e32 v23, v2
	v_lshlrev_b64 v[21:22], 2, v[21:22]
	v_or_b32_e32 v24, 0x3600, v1
	v_add_co_u32 v16, vcc_lo, s2, v17
	v_add_co_ci_u32_e64 v17, null, s3, v18, vcc_lo
	v_add_co_u32 v18, vcc_lo, s2, v19
	v_add_co_ci_u32_e64 v19, null, s3, v20, vcc_lo
	v_add_co_u32 v20, vcc_lo, s2, v21
	v_add_co_ci_u32_e64 v21, null, s3, v22, vcc_lo
	v_or_b32_e32 v22, 0x3500, v1
	v_mov_b32_e32 v25, v2
	global_store_dword v[16:17], v14, off
	global_store_dword v[18:19], v15, off
	v_or_b32_e32 v18, 0x3700, v1
	v_mov_b32_e32 v19, v2
	v_lshlrev_b64 v[14:15], 2, v[22:23]
	v_lshlrev_b64 v[16:17], 2, v[24:25]
	global_store_dword v[20:21], v13, off
	v_mov_b32_e32 v20, v2
	v_lshlrev_b64 v[18:19], 2, v[18:19]
	v_or_b32_e32 v21, 0x3900, v1
	v_add_co_u32 v13, vcc_lo, s2, v14
	v_add_co_ci_u32_e64 v14, null, s3, v15, vcc_lo
	v_add_co_u32 v15, vcc_lo, s2, v16
	v_add_co_ci_u32_e64 v16, null, s3, v17, vcc_lo
	v_add_co_u32 v17, vcc_lo, s2, v18
	v_add_co_ci_u32_e64 v18, null, s3, v19, vcc_lo
	v_or_b32_e32 v19, 0x3800, v1
	v_mov_b32_e32 v22, v2
	global_store_dword v[13:14], v11, off
	;; [unrolled: 18-line block ×3, first 2 shown]
	global_store_dword v[12:13], v9, off
	v_or_b32_e32 v12, 0x3d00, v1
	v_mov_b32_e32 v13, v2
	v_lshlrev_b64 v[8:9], 2, v[16:17]
	global_store_dword v[14:15], v7, off
	v_or_b32_e32 v14, 0x3e00, v1
	v_mov_b32_e32 v15, v2
	v_lshlrev_b64 v[10:11], 2, v[18:19]
	v_or_b32_e32 v1, 0x3f00, v1
	v_lshlrev_b64 v[12:13], 2, v[12:13]
	v_add_co_u32 v7, vcc_lo, s2, v8
	v_lshlrev_b64 v[14:15], 2, v[14:15]
	v_add_co_ci_u32_e64 v8, null, s3, v9, vcc_lo
	v_add_co_u32 v9, vcc_lo, s2, v10
	v_lshlrev_b64 v[1:2], 2, v[1:2]
	v_add_co_ci_u32_e64 v10, null, s3, v11, vcc_lo
	v_add_co_u32 v11, vcc_lo, s2, v12
	v_add_co_ci_u32_e64 v12, null, s3, v13, vcc_lo
	v_add_co_u32 v13, vcc_lo, s2, v14
	;; [unrolled: 2-line block ×3, first 2 shown]
	v_add_co_ci_u32_e64 v2, null, s3, v2, vcc_lo
	global_store_dword v[7:8], v0, off
	global_store_dword v[9:10], v3, off
	;; [unrolled: 1-line block ×3, first 2 shown]
	s_waitcnt vmcnt(1)
	global_store_dword v[13:14], v6, off
	s_waitcnt vmcnt(0)
	global_store_dword v[1:2], v5, off
	s_endpgm
	.section	.rodata,"a",@progbits
	.p2align	6, 0x0
	.amdhsa_kernel _Z16warp_load_kernelILj256ELj64ELj64ELN6hipcub17WarpLoadAlgorithmE1EiEvPT3_S3_
		.amdhsa_group_segment_fixed_size 0
		.amdhsa_private_segment_fixed_size 0
		.amdhsa_kernarg_size 16
		.amdhsa_user_sgpr_count 6
		.amdhsa_user_sgpr_private_segment_buffer 1
		.amdhsa_user_sgpr_dispatch_ptr 0
		.amdhsa_user_sgpr_queue_ptr 0
		.amdhsa_user_sgpr_kernarg_segment_ptr 1
		.amdhsa_user_sgpr_dispatch_id 0
		.amdhsa_user_sgpr_flat_scratch_init 0
		.amdhsa_user_sgpr_private_segment_size 0
		.amdhsa_wavefront_size32 1
		.amdhsa_uses_dynamic_stack 0
		.amdhsa_system_sgpr_private_segment_wavefront_offset 0
		.amdhsa_system_sgpr_workgroup_id_x 1
		.amdhsa_system_sgpr_workgroup_id_y 0
		.amdhsa_system_sgpr_workgroup_id_z 0
		.amdhsa_system_sgpr_workgroup_info 0
		.amdhsa_system_vgpr_workitem_id 0
		.amdhsa_next_free_vgpr 79
		.amdhsa_next_free_sgpr 7
		.amdhsa_reserve_vcc 1
		.amdhsa_reserve_flat_scratch 0
		.amdhsa_float_round_mode_32 0
		.amdhsa_float_round_mode_16_64 0
		.amdhsa_float_denorm_mode_32 3
		.amdhsa_float_denorm_mode_16_64 3
		.amdhsa_dx10_clamp 1
		.amdhsa_ieee_mode 1
		.amdhsa_fp16_overflow 0
		.amdhsa_workgroup_processor_mode 1
		.amdhsa_memory_ordered 1
		.amdhsa_forward_progress 1
		.amdhsa_shared_vgpr_count 0
		.amdhsa_exception_fp_ieee_invalid_op 0
		.amdhsa_exception_fp_denorm_src 0
		.amdhsa_exception_fp_ieee_div_zero 0
		.amdhsa_exception_fp_ieee_overflow 0
		.amdhsa_exception_fp_ieee_underflow 0
		.amdhsa_exception_fp_ieee_inexact 0
		.amdhsa_exception_int_div_zero 0
	.end_amdhsa_kernel
	.section	.text._Z16warp_load_kernelILj256ELj64ELj64ELN6hipcub17WarpLoadAlgorithmE1EiEvPT3_S3_,"axG",@progbits,_Z16warp_load_kernelILj256ELj64ELj64ELN6hipcub17WarpLoadAlgorithmE1EiEvPT3_S3_,comdat
.Lfunc_end54:
	.size	_Z16warp_load_kernelILj256ELj64ELj64ELN6hipcub17WarpLoadAlgorithmE1EiEvPT3_S3_, .Lfunc_end54-_Z16warp_load_kernelILj256ELj64ELj64ELN6hipcub17WarpLoadAlgorithmE1EiEvPT3_S3_
                                        ; -- End function
	.set _Z16warp_load_kernelILj256ELj64ELj64ELN6hipcub17WarpLoadAlgorithmE1EiEvPT3_S3_.num_vgpr, 79
	.set _Z16warp_load_kernelILj256ELj64ELj64ELN6hipcub17WarpLoadAlgorithmE1EiEvPT3_S3_.num_agpr, 0
	.set _Z16warp_load_kernelILj256ELj64ELj64ELN6hipcub17WarpLoadAlgorithmE1EiEvPT3_S3_.numbered_sgpr, 7
	.set _Z16warp_load_kernelILj256ELj64ELj64ELN6hipcub17WarpLoadAlgorithmE1EiEvPT3_S3_.num_named_barrier, 0
	.set _Z16warp_load_kernelILj256ELj64ELj64ELN6hipcub17WarpLoadAlgorithmE1EiEvPT3_S3_.private_seg_size, 0
	.set _Z16warp_load_kernelILj256ELj64ELj64ELN6hipcub17WarpLoadAlgorithmE1EiEvPT3_S3_.uses_vcc, 1
	.set _Z16warp_load_kernelILj256ELj64ELj64ELN6hipcub17WarpLoadAlgorithmE1EiEvPT3_S3_.uses_flat_scratch, 0
	.set _Z16warp_load_kernelILj256ELj64ELj64ELN6hipcub17WarpLoadAlgorithmE1EiEvPT3_S3_.has_dyn_sized_stack, 0
	.set _Z16warp_load_kernelILj256ELj64ELj64ELN6hipcub17WarpLoadAlgorithmE1EiEvPT3_S3_.has_recursion, 0
	.set _Z16warp_load_kernelILj256ELj64ELj64ELN6hipcub17WarpLoadAlgorithmE1EiEvPT3_S3_.has_indirect_call, 0
	.section	.AMDGPU.csdata,"",@progbits
; Kernel info:
; codeLenInByte = 3732
; TotalNumSgprs: 9
; NumVgprs: 79
; ScratchSize: 0
; MemoryBound: 0
; FloatMode: 240
; IeeeMode: 1
; LDSByteSize: 0 bytes/workgroup (compile time only)
; SGPRBlocks: 0
; VGPRBlocks: 9
; NumSGPRsForWavesPerEU: 9
; NumVGPRsForWavesPerEU: 79
; Occupancy: 12
; WaveLimiterHint : 1
; COMPUTE_PGM_RSRC2:SCRATCH_EN: 0
; COMPUTE_PGM_RSRC2:USER_SGPR: 6
; COMPUTE_PGM_RSRC2:TRAP_HANDLER: 0
; COMPUTE_PGM_RSRC2:TGID_X_EN: 1
; COMPUTE_PGM_RSRC2:TGID_Y_EN: 0
; COMPUTE_PGM_RSRC2:TGID_Z_EN: 0
; COMPUTE_PGM_RSRC2:TIDIG_COMP_CNT: 0
	.section	.text._Z16warp_load_kernelILj256ELj64ELj64ELN6hipcub17WarpLoadAlgorithmE2EiEvPT3_S3_,"axG",@progbits,_Z16warp_load_kernelILj256ELj64ELj64ELN6hipcub17WarpLoadAlgorithmE2EiEvPT3_S3_,comdat
	.protected	_Z16warp_load_kernelILj256ELj64ELj64ELN6hipcub17WarpLoadAlgorithmE2EiEvPT3_S3_ ; -- Begin function _Z16warp_load_kernelILj256ELj64ELj64ELN6hipcub17WarpLoadAlgorithmE2EiEvPT3_S3_
	.globl	_Z16warp_load_kernelILj256ELj64ELj64ELN6hipcub17WarpLoadAlgorithmE2EiEvPT3_S3_
	.p2align	8
	.type	_Z16warp_load_kernelILj256ELj64ELj64ELN6hipcub17WarpLoadAlgorithmE2EiEvPT3_S3_,@function
_Z16warp_load_kernelILj256ELj64ELj64ELN6hipcub17WarpLoadAlgorithmE2EiEvPT3_S3_: ; @_Z16warp_load_kernelILj256ELj64ELj64ELN6hipcub17WarpLoadAlgorithmE2EiEvPT3_S3_
; %bb.0:
	s_load_dwordx4 s[0:3], s[4:5], 0x0
	v_lshlrev_b32_e32 v1, 6, v0
	s_lshl_b32 s4, s6, 14
	v_mov_b32_e32 v49, 0
	v_mbcnt_lo_u32_b32 v3, -1, 0
	v_and_or_b32 v48, 0x3000, v1, s4
	v_mov_b32_e32 v67, v49
	v_lshlrev_b32_e32 v3, 8, v3
	v_mov_b32_e32 v69, v49
	v_lshlrev_b64 v[1:2], 2, v[48:49]
	v_or_b32_e32 v48, s4, v0
	v_mov_b32_e32 v76, v49
	v_mov_b32_e32 v78, v49
	v_or_b32_e32 v0, 0x200, v48
	v_lshlrev_b64 v[4:5], 2, v[48:49]
	v_or_b32_e32 v66, 0x400, v48
	s_waitcnt lgkmcnt(0)
	v_add_co_u32 v1, vcc_lo, s0, v1
	v_add_co_ci_u32_e64 v2, null, s1, v2, vcc_lo
	v_or_b32_e32 v68, 0x500, v48
	v_add_co_u32 v12, vcc_lo, v1, v3
	v_add_co_ci_u32_e64 v13, null, 0, v2, vcc_lo
	v_mov_b32_e32 v1, v49
	v_mov_b32_e32 v3, v49
	v_or_b32_e32 v2, 0x300, v48
	s_clause 0xb
	global_load_dwordx4 v[50:53], v[12:13], off
	global_load_dwordx4 v[54:57], v[12:13], off offset:16
	global_load_dwordx4 v[58:61], v[12:13], off offset:32
	;; [unrolled: 1-line block ×11, first 2 shown]
	v_lshlrev_b64 v[0:1], 2, v[0:1]
	v_lshlrev_b64 v[2:3], 2, v[2:3]
	v_add_co_u32 v70, vcc_lo, s2, v4
	v_add_co_ci_u32_e64 v71, null, s3, v5, vcc_lo
	v_add_co_u32 v72, vcc_lo, s2, v0
	v_add_co_ci_u32_e64 v73, null, s3, v1, vcc_lo
	;; [unrolled: 2-line block ×3, first 2 shown]
	s_clause 0x3
	global_load_dwordx4 v[0:3], v[12:13], off offset:240
	global_load_dwordx4 v[4:7], v[12:13], off offset:224
	;; [unrolled: 1-line block ×4, first 2 shown]
	v_lshlrev_b64 v[66:67], 2, v[66:67]
	v_lshlrev_b64 v[68:69], 2, v[68:69]
	v_or_b32_e32 v77, 0x2700, v48
	s_waitcnt vmcnt(15)
	global_store_dword v[70:71], v50, off
	global_store_dword v[70:71], v51, off offset:1024
	v_mov_b32_e32 v51, v49
	v_or_b32_e32 v50, 0x600, v48
	v_mov_b32_e32 v71, v49
	v_or_b32_e32 v70, 0x700, v48
	v_add_co_u32 v66, vcc_lo, s2, v66
	v_lshlrev_b64 v[50:51], 2, v[50:51]
	v_add_co_ci_u32_e64 v67, null, s3, v67, vcc_lo
	v_lshlrev_b64 v[70:71], 2, v[70:71]
	v_add_co_u32 v68, vcc_lo, s2, v68
	v_add_co_ci_u32_e64 v69, null, s3, v69, vcc_lo
	v_add_co_u32 v50, vcc_lo, s2, v50
	v_add_co_ci_u32_e64 v51, null, s3, v51, vcc_lo
	;; [unrolled: 2-line block ×3, first 2 shown]
	global_store_dword v[72:73], v52, off
	v_mov_b32_e32 v52, v49
	s_waitcnt vmcnt(14)
	global_store_dword v[50:51], v56, off
	v_or_b32_e32 v51, 0x800, v48
	v_mov_b32_e32 v72, v49
	global_store_dword v[70:71], v57, off
	v_or_b32_e32 v71, 0x900, v48
	global_store_dword v[74:75], v53, off
	v_mov_b32_e32 v74, v49
	v_or_b32_e32 v73, 0xa00, v48
	v_lshlrev_b64 v[50:51], 2, v[51:52]
	global_store_dword v[66:67], v54, off
	v_mov_b32_e32 v54, v49
	v_or_b32_e32 v53, 0xb00, v48
	global_store_dword v[68:69], v55, off
	v_lshlrev_b64 v[68:69], 2, v[71:72]
	v_lshlrev_b64 v[70:71], 2, v[73:74]
	v_add_co_u32 v50, vcc_lo, s2, v50
	v_lshlrev_b64 v[53:54], 2, v[53:54]
	v_add_co_ci_u32_e64 v51, null, s3, v51, vcc_lo
	v_add_co_u32 v68, vcc_lo, s2, v68
	v_add_co_ci_u32_e64 v69, null, s3, v69, vcc_lo
	v_add_co_u32 v70, vcc_lo, s2, v70
	v_add_co_ci_u32_e64 v71, null, s3, v71, vcc_lo
	v_add_co_u32 v72, vcc_lo, s2, v53
	v_mov_b32_e32 v55, v49
	v_add_co_ci_u32_e64 v73, null, s3, v54, vcc_lo
	v_or_b32_e32 v54, 0xc00, v48
	v_mov_b32_e32 v67, v49
	v_or_b32_e32 v66, 0xd00, v48
	v_mov_b32_e32 v57, v49
	v_or_b32_e32 v56, 0xe00, v48
	v_lshlrev_b64 v[54:55], 2, v[54:55]
	s_waitcnt vmcnt(13)
	global_store_dword v[50:51], v58, off
	v_lshlrev_b64 v[66:67], 2, v[66:67]
	v_or_b32_e32 v51, 0xf00, v48
	v_lshlrev_b64 v[56:57], 2, v[56:57]
	v_mov_b32_e32 v53, v49
	v_add_co_u32 v54, vcc_lo, s2, v54
	v_add_co_ci_u32_e64 v55, null, s3, v55, vcc_lo
	v_add_co_u32 v66, vcc_lo, s2, v66
	v_add_co_ci_u32_e64 v67, null, s3, v67, vcc_lo
	v_add_co_u32 v56, vcc_lo, s2, v56
	v_lshlrev_b64 v[50:51], 2, v[51:52]
	v_add_co_ci_u32_e64 v57, null, s3, v57, vcc_lo
	v_or_b32_e32 v52, 0x1000, v48
	v_mov_b32_e32 v58, v49
	global_store_dword v[68:69], v59, off
	v_add_co_u32 v50, vcc_lo, s2, v50
	s_waitcnt vmcnt(12)
	global_store_dword v[56:57], v64, off
	v_or_b32_e32 v57, 0x1100, v48
	v_mov_b32_e32 v68, v49
	v_add_co_ci_u32_e64 v51, null, s3, v51, vcc_lo
	global_store_dword v[66:67], v63, off
	v_or_b32_e32 v67, 0x1200, v48
	v_lshlrev_b64 v[52:53], 2, v[52:53]
	v_lshlrev_b64 v[56:57], 2, v[57:58]
	global_store_dword v[50:51], v65, off
	global_store_dword v[70:71], v60, off
	v_lshlrev_b64 v[65:66], 2, v[67:68]
	v_mov_b32_e32 v60, v49
	v_or_b32_e32 v59, 0x1300, v48
	v_add_co_u32 v52, vcc_lo, s2, v52
	v_add_co_ci_u32_e64 v53, null, s3, v53, vcc_lo
	v_add_co_u32 v56, vcc_lo, s2, v56
	global_store_dword v[72:73], v61, off
	v_mov_b32_e32 v61, v49
	v_lshlrev_b64 v[58:59], 2, v[59:60]
	v_add_co_ci_u32_e64 v57, null, s3, v57, vcc_lo
	v_add_co_u32 v65, vcc_lo, s2, v65
	v_or_b32_e32 v60, 0x1400, v48
	v_mov_b32_e32 v69, v49
	v_add_co_ci_u32_e64 v66, null, s3, v66, vcc_lo
	v_or_b32_e32 v68, 0x1500, v48
	v_lshlrev_b64 v[60:61], 2, v[60:61]
	v_mov_b32_e32 v71, v49
	s_waitcnt vmcnt(11)
	global_store_dword v[65:66], v46, off
	v_or_b32_e32 v70, 0x1600, v48
	v_lshlrev_b64 v[65:66], 2, v[68:69]
	global_store_dword v[54:55], v62, off
	v_mov_b32_e32 v54, v49
	v_add_co_u32 v58, vcc_lo, s2, v58
	global_store_dword v[52:53], v44, off
	v_or_b32_e32 v53, 0x1700, v48
	v_add_co_ci_u32_e64 v59, null, s3, v59, vcc_lo
	v_add_co_u32 v60, vcc_lo, s2, v60
	v_lshlrev_b64 v[68:69], 2, v[70:71]
	v_add_co_ci_u32_e64 v61, null, s3, v61, vcc_lo
	v_add_co_u32 v65, vcc_lo, s2, v65
	v_lshlrev_b64 v[52:53], 2, v[53:54]
	v_add_co_ci_u32_e64 v66, null, s3, v66, vcc_lo
	v_mov_b32_e32 v55, v49
	v_or_b32_e32 v54, 0x1800, v48
	v_add_co_u32 v68, vcc_lo, s2, v68
	v_mov_b32_e32 v62, v49
	global_store_dword v[56:57], v45, off
	global_store_dword v[58:59], v47, off
	s_waitcnt vmcnt(10)
	global_store_dword v[60:61], v40, off
	global_store_dword v[65:66], v41, off
	v_or_b32_e32 v61, 0x1900, v48
	v_add_co_ci_u32_e64 v69, null, s3, v69, vcc_lo
	v_add_co_u32 v52, vcc_lo, s2, v52
	v_mov_b32_e32 v51, v49
	v_or_b32_e32 v50, 0x1a00, v48
	v_add_co_ci_u32_e64 v53, null, s3, v53, vcc_lo
	v_lshlrev_b64 v[54:55], 2, v[54:55]
	v_mov_b32_e32 v64, v49
	v_or_b32_e32 v63, 0x1b00, v48
	v_lshlrev_b64 v[60:61], 2, v[61:62]
	v_mov_b32_e32 v67, v49
	v_or_b32_e32 v66, 0x1c00, v48
	v_lshlrev_b64 v[50:51], 2, v[50:51]
	v_mov_b32_e32 v44, v49
	global_store_dword v[52:53], v43, off
	v_or_b32_e32 v43, 0x1d00, v48
	v_lshlrev_b64 v[62:63], 2, v[63:64]
	v_add_co_u32 v54, vcc_lo, s2, v54
	v_mov_b32_e32 v57, v49
	v_or_b32_e32 v56, 0x1e00, v48
	v_lshlrev_b64 v[64:65], 2, v[66:67]
	v_add_co_ci_u32_e64 v55, null, s3, v55, vcc_lo
	v_add_co_u32 v60, vcc_lo, s2, v60
	v_mov_b32_e32 v46, v49
	v_or_b32_e32 v45, 0x1f00, v48
	global_store_dword v[68:69], v42, off
	v_lshlrev_b64 v[42:43], 2, v[43:44]
	v_add_co_ci_u32_e64 v61, null, s3, v61, vcc_lo
	v_add_co_u32 v50, vcc_lo, s2, v50
	v_mov_b32_e32 v59, v49
	v_or_b32_e32 v58, 0x2000, v48
	v_lshlrev_b64 v[56:57], 2, v[56:57]
	v_add_co_ci_u32_e64 v51, null, s3, v51, vcc_lo
	v_add_co_u32 v62, vcc_lo, s2, v62
	v_mov_b32_e32 v72, v49
	v_or_b32_e32 v71, 0x2100, v48
	;; [unrolled: 5-line block ×3, first 2 shown]
	v_lshlrev_b64 v[46:47], 2, v[58:59]
	v_add_co_ci_u32_e64 v65, null, s3, v65, vcc_lo
	v_add_co_u32 v42, vcc_lo, s2, v42
	v_or_b32_e32 v73, 0x2300, v48
	v_lshlrev_b64 v[58:59], 2, v[71:72]
	v_add_co_ci_u32_e64 v43, null, s3, v43, vcc_lo
	v_add_co_u32 v56, vcc_lo, s2, v56
	v_mov_b32_e32 v41, v49
	v_or_b32_e32 v40, 0x2400, v48
	v_lshlrev_b64 v[66:67], 2, v[69:70]
	v_add_co_ci_u32_e64 v57, null, s3, v57, vcc_lo
	v_add_co_u32 v44, vcc_lo, s2, v44
	v_or_b32_e32 v75, 0x2500, v48
	v_lshlrev_b64 v[68:69], 2, v[73:74]
	v_add_co_ci_u32_e64 v45, null, s3, v45, vcc_lo
	v_add_co_u32 v46, vcc_lo, s2, v46
	v_mov_b32_e32 v53, v49
	v_or_b32_e32 v52, 0x2600, v48
	v_lshlrev_b64 v[40:41], 2, v[40:41]
	v_add_co_ci_u32_e64 v47, null, s3, v47, vcc_lo
	v_add_co_u32 v58, vcc_lo, s2, v58
	v_lshlrev_b64 v[70:71], 2, v[75:76]
	v_add_co_ci_u32_e64 v59, null, s3, v59, vcc_lo
	v_add_co_u32 v66, vcc_lo, s2, v66
	v_add_co_ci_u32_e64 v67, null, s3, v67, vcc_lo
	v_add_co_u32 v68, vcc_lo, s2, v68
	v_mov_b32_e32 v75, v49
	v_or_b32_e32 v74, 0x2800, v48
	v_lshlrev_b64 v[52:53], 2, v[52:53]
	v_add_co_ci_u32_e64 v69, null, s3, v69, vcc_lo
	v_add_co_u32 v40, vcc_lo, s2, v40
	s_waitcnt vmcnt(9)
	global_store_dword v[54:55], v24, off
	v_mov_b32_e32 v55, v49
	v_or_b32_e32 v54, 0x2900, v48
	v_lshlrev_b64 v[72:73], 2, v[77:78]
	v_add_co_ci_u32_e64 v41, null, s3, v41, vcc_lo
	v_add_co_u32 v70, vcc_lo, s2, v70
	global_store_dword v[60:61], v25, off
	v_or_b32_e32 v24, 0x2a00, v48
	v_mov_b32_e32 v25, v49
	v_lshlrev_b64 v[74:75], 2, v[74:75]
	v_add_co_ci_u32_e64 v71, null, s3, v71, vcc_lo
	global_store_dword v[50:51], v26, off
	global_store_dword v[62:63], v27, off
	s_waitcnt vmcnt(8)
	global_store_dword v[64:65], v32, off
	global_store_dword v[42:43], v33, off
	;; [unrolled: 1-line block ×4, first 2 shown]
	s_waitcnt vmcnt(6)
	global_store_dword v[46:47], v36, off
	global_store_dword v[58:59], v37, off
	;; [unrolled: 1-line block ×6, first 2 shown]
	v_or_b32_e32 v28, 0x2b00, v48
	v_mov_b32_e32 v29, v49
	v_add_co_u32 v52, vcc_lo, s2, v52
	v_lshlrev_b64 v[26:27], 2, v[54:55]
	v_add_co_ci_u32_e64 v53, null, s3, v53, vcc_lo
	v_add_co_u32 v72, vcc_lo, s2, v72
	v_lshlrev_b64 v[24:25], 2, v[24:25]
	v_add_co_ci_u32_e64 v73, null, s3, v73, vcc_lo
	v_add_co_u32 v74, vcc_lo, s2, v74
	v_lshlrev_b64 v[28:29], 2, v[28:29]
	v_add_co_ci_u32_e64 v75, null, s3, v75, vcc_lo
	v_add_co_u32 v26, vcc_lo, s2, v26
	v_add_co_ci_u32_e64 v27, null, s3, v27, vcc_lo
	v_add_co_u32 v24, vcc_lo, s2, v24
	global_store_dword v[52:53], v30, off
	global_store_dword v[72:73], v31, off
	v_add_co_ci_u32_e64 v25, null, s3, v25, vcc_lo
	v_add_co_u32 v28, vcc_lo, s2, v28
	v_or_b32_e32 v30, 0x2c00, v48
	v_mov_b32_e32 v31, v49
	v_add_co_ci_u32_e64 v29, null, s3, v29, vcc_lo
	v_or_b32_e32 v32, 0x2d00, v48
	v_mov_b32_e32 v33, v49
	s_waitcnt vmcnt(4)
	global_store_dword v[74:75], v20, off
	global_store_dword v[26:27], v21, off
	;; [unrolled: 1-line block ×3, first 2 shown]
	v_lshlrev_b64 v[20:21], 2, v[30:31]
	global_store_dword v[28:29], v23, off
	v_lshlrev_b64 v[22:23], 2, v[32:33]
	v_or_b32_e32 v24, 0x2e00, v48
	v_mov_b32_e32 v25, v49
	v_or_b32_e32 v26, 0x2f00, v48
	v_add_co_u32 v20, vcc_lo, s2, v20
	v_add_co_ci_u32_e64 v21, null, s3, v21, vcc_lo
	v_add_co_u32 v22, vcc_lo, s2, v22
	v_add_co_ci_u32_e64 v23, null, s3, v23, vcc_lo
	v_mov_b32_e32 v27, v49
	v_lshlrev_b64 v[24:25], 2, v[24:25]
	v_or_b32_e32 v28, 0x3000, v48
	v_mov_b32_e32 v29, v49
	global_store_dword v[20:21], v16, off
	global_store_dword v[22:23], v17, off
	v_or_b32_e32 v22, 0x3100, v48
	v_mov_b32_e32 v23, v49
	v_lshlrev_b64 v[16:17], 2, v[26:27]
	v_lshlrev_b64 v[20:21], 2, v[28:29]
	v_add_co_u32 v24, vcc_lo, s2, v24
	v_lshlrev_b64 v[22:23], 2, v[22:23]
	v_add_co_ci_u32_e64 v25, null, s3, v25, vcc_lo
	v_add_co_u32 v16, vcc_lo, s2, v16
	v_add_co_ci_u32_e64 v17, null, s3, v17, vcc_lo
	v_add_co_u32 v20, vcc_lo, s2, v20
	global_store_dword v[24:25], v18, off
	v_add_co_ci_u32_e64 v21, null, s3, v21, vcc_lo
	v_add_co_u32 v22, vcc_lo, s2, v22
	v_or_b32_e32 v24, 0x3200, v48
	v_mov_b32_e32 v25, v49
	v_add_co_ci_u32_e64 v23, null, s3, v23, vcc_lo
	v_or_b32_e32 v26, 0x3300, v48
	global_store_dword v[16:17], v19, off
	s_waitcnt vmcnt(0)
	global_store_dword v[20:21], v12, off
	v_lshlrev_b64 v[16:17], 2, v[24:25]
	global_store_dword v[22:23], v13, off
	v_or_b32_e32 v18, 0x3400, v48
	v_lshlrev_b64 v[12:13], 2, v[26:27]
	v_mov_b32_e32 v19, v49
	v_or_b32_e32 v20, 0x3500, v48
	v_add_co_u32 v16, vcc_lo, s2, v16
	v_add_co_ci_u32_e64 v17, null, s3, v17, vcc_lo
	v_add_co_u32 v12, vcc_lo, s2, v12
	v_add_co_ci_u32_e64 v13, null, s3, v13, vcc_lo
	v_mov_b32_e32 v21, v49
	v_lshlrev_b64 v[18:19], 2, v[18:19]
	v_or_b32_e32 v22, 0x3600, v48
	v_mov_b32_e32 v23, v49
	global_store_dword v[16:17], v14, off
	global_store_dword v[12:13], v15, off
	v_or_b32_e32 v16, 0x3700, v48
	v_mov_b32_e32 v17, v49
	v_lshlrev_b64 v[12:13], 2, v[20:21]
	v_lshlrev_b64 v[14:15], 2, v[22:23]
	v_add_co_u32 v18, vcc_lo, s2, v18
	v_lshlrev_b64 v[16:17], 2, v[16:17]
	v_add_co_ci_u32_e64 v19, null, s3, v19, vcc_lo
	v_add_co_u32 v12, vcc_lo, s2, v12
	v_add_co_ci_u32_e64 v13, null, s3, v13, vcc_lo
	v_add_co_u32 v14, vcc_lo, s2, v14
	global_store_dword v[18:19], v8, off
	v_add_co_ci_u32_e64 v15, null, s3, v15, vcc_lo
	v_add_co_u32 v16, vcc_lo, s2, v16
	v_or_b32_e32 v18, 0x3800, v48
	v_mov_b32_e32 v19, v49
	v_add_co_ci_u32_e64 v17, null, s3, v17, vcc_lo
	v_or_b32_e32 v20, 0x3900, v48
	global_store_dword v[12:13], v9, off
	global_store_dword v[14:15], v10, off
	v_or_b32_e32 v12, 0x3a00, v48
	v_mov_b32_e32 v13, v49
	v_lshlrev_b64 v[8:9], 2, v[18:19]
	global_store_dword v[16:17], v11, off
	v_lshlrev_b64 v[10:11], 2, v[20:21]
	v_or_b32_e32 v14, 0x3b00, v48
	v_lshlrev_b64 v[12:13], 2, v[12:13]
	v_mov_b32_e32 v15, v49
	v_add_co_u32 v8, vcc_lo, s2, v8
	v_add_co_ci_u32_e64 v9, null, s3, v9, vcc_lo
	v_add_co_u32 v10, vcc_lo, s2, v10
	v_add_co_ci_u32_e64 v11, null, s3, v11, vcc_lo
	;; [unrolled: 2-line block ×3, first 2 shown]
	v_or_b32_e32 v16, 0x3c00, v48
	v_mov_b32_e32 v17, v49
	global_store_dword v[8:9], v4, off
	global_store_dword v[10:11], v5, off
	v_or_b32_e32 v10, 0x3d00, v48
	v_mov_b32_e32 v11, v49
	v_lshlrev_b64 v[4:5], 2, v[14:15]
	global_store_dword v[12:13], v6, off
	v_or_b32_e32 v12, 0x3e00, v48
	v_mov_b32_e32 v13, v49
	v_lshlrev_b64 v[8:9], 2, v[16:17]
	v_or_b32_e32 v48, 0x3f00, v48
	v_lshlrev_b64 v[10:11], 2, v[10:11]
	v_add_co_u32 v4, vcc_lo, s2, v4
	v_lshlrev_b64 v[12:13], 2, v[12:13]
	v_add_co_ci_u32_e64 v5, null, s3, v5, vcc_lo
	v_add_co_u32 v8, vcc_lo, s2, v8
	v_lshlrev_b64 v[14:15], 2, v[48:49]
	v_add_co_ci_u32_e64 v9, null, s3, v9, vcc_lo
	v_add_co_u32 v10, vcc_lo, s2, v10
	v_add_co_ci_u32_e64 v11, null, s3, v11, vcc_lo
	v_add_co_u32 v12, vcc_lo, s2, v12
	v_add_co_ci_u32_e64 v13, null, s3, v13, vcc_lo
	v_add_co_u32 v14, vcc_lo, s2, v14
	v_add_co_ci_u32_e64 v15, null, s3, v15, vcc_lo
	global_store_dword v[4:5], v7, off
	global_store_dword v[8:9], v0, off
	;; [unrolled: 1-line block ×5, first 2 shown]
	s_endpgm
	.section	.rodata,"a",@progbits
	.p2align	6, 0x0
	.amdhsa_kernel _Z16warp_load_kernelILj256ELj64ELj64ELN6hipcub17WarpLoadAlgorithmE2EiEvPT3_S3_
		.amdhsa_group_segment_fixed_size 0
		.amdhsa_private_segment_fixed_size 0
		.amdhsa_kernarg_size 16
		.amdhsa_user_sgpr_count 6
		.amdhsa_user_sgpr_private_segment_buffer 1
		.amdhsa_user_sgpr_dispatch_ptr 0
		.amdhsa_user_sgpr_queue_ptr 0
		.amdhsa_user_sgpr_kernarg_segment_ptr 1
		.amdhsa_user_sgpr_dispatch_id 0
		.amdhsa_user_sgpr_flat_scratch_init 0
		.amdhsa_user_sgpr_private_segment_size 0
		.amdhsa_wavefront_size32 1
		.amdhsa_uses_dynamic_stack 0
		.amdhsa_system_sgpr_private_segment_wavefront_offset 0
		.amdhsa_system_sgpr_workgroup_id_x 1
		.amdhsa_system_sgpr_workgroup_id_y 0
		.amdhsa_system_sgpr_workgroup_id_z 0
		.amdhsa_system_sgpr_workgroup_info 0
		.amdhsa_system_vgpr_workitem_id 0
		.amdhsa_next_free_vgpr 79
		.amdhsa_next_free_sgpr 7
		.amdhsa_reserve_vcc 1
		.amdhsa_reserve_flat_scratch 0
		.amdhsa_float_round_mode_32 0
		.amdhsa_float_round_mode_16_64 0
		.amdhsa_float_denorm_mode_32 3
		.amdhsa_float_denorm_mode_16_64 3
		.amdhsa_dx10_clamp 1
		.amdhsa_ieee_mode 1
		.amdhsa_fp16_overflow 0
		.amdhsa_workgroup_processor_mode 1
		.amdhsa_memory_ordered 1
		.amdhsa_forward_progress 1
		.amdhsa_shared_vgpr_count 0
		.amdhsa_exception_fp_ieee_invalid_op 0
		.amdhsa_exception_fp_denorm_src 0
		.amdhsa_exception_fp_ieee_div_zero 0
		.amdhsa_exception_fp_ieee_overflow 0
		.amdhsa_exception_fp_ieee_underflow 0
		.amdhsa_exception_fp_ieee_inexact 0
		.amdhsa_exception_int_div_zero 0
	.end_amdhsa_kernel
	.section	.text._Z16warp_load_kernelILj256ELj64ELj64ELN6hipcub17WarpLoadAlgorithmE2EiEvPT3_S3_,"axG",@progbits,_Z16warp_load_kernelILj256ELj64ELj64ELN6hipcub17WarpLoadAlgorithmE2EiEvPT3_S3_,comdat
.Lfunc_end55:
	.size	_Z16warp_load_kernelILj256ELj64ELj64ELN6hipcub17WarpLoadAlgorithmE2EiEvPT3_S3_, .Lfunc_end55-_Z16warp_load_kernelILj256ELj64ELj64ELN6hipcub17WarpLoadAlgorithmE2EiEvPT3_S3_
                                        ; -- End function
	.set _Z16warp_load_kernelILj256ELj64ELj64ELN6hipcub17WarpLoadAlgorithmE2EiEvPT3_S3_.num_vgpr, 79
	.set _Z16warp_load_kernelILj256ELj64ELj64ELN6hipcub17WarpLoadAlgorithmE2EiEvPT3_S3_.num_agpr, 0
	.set _Z16warp_load_kernelILj256ELj64ELj64ELN6hipcub17WarpLoadAlgorithmE2EiEvPT3_S3_.numbered_sgpr, 7
	.set _Z16warp_load_kernelILj256ELj64ELj64ELN6hipcub17WarpLoadAlgorithmE2EiEvPT3_S3_.num_named_barrier, 0
	.set _Z16warp_load_kernelILj256ELj64ELj64ELN6hipcub17WarpLoadAlgorithmE2EiEvPT3_S3_.private_seg_size, 0
	.set _Z16warp_load_kernelILj256ELj64ELj64ELN6hipcub17WarpLoadAlgorithmE2EiEvPT3_S3_.uses_vcc, 1
	.set _Z16warp_load_kernelILj256ELj64ELj64ELN6hipcub17WarpLoadAlgorithmE2EiEvPT3_S3_.uses_flat_scratch, 0
	.set _Z16warp_load_kernelILj256ELj64ELj64ELN6hipcub17WarpLoadAlgorithmE2EiEvPT3_S3_.has_dyn_sized_stack, 0
	.set _Z16warp_load_kernelILj256ELj64ELj64ELN6hipcub17WarpLoadAlgorithmE2EiEvPT3_S3_.has_recursion, 0
	.set _Z16warp_load_kernelILj256ELj64ELj64ELN6hipcub17WarpLoadAlgorithmE2EiEvPT3_S3_.has_indirect_call, 0
	.section	.AMDGPU.csdata,"",@progbits
; Kernel info:
; codeLenInByte = 3024
; TotalNumSgprs: 9
; NumVgprs: 79
; ScratchSize: 0
; MemoryBound: 0
; FloatMode: 240
; IeeeMode: 1
; LDSByteSize: 0 bytes/workgroup (compile time only)
; SGPRBlocks: 0
; VGPRBlocks: 9
; NumSGPRsForWavesPerEU: 9
; NumVGPRsForWavesPerEU: 79
; Occupancy: 12
; WaveLimiterHint : 1
; COMPUTE_PGM_RSRC2:SCRATCH_EN: 0
; COMPUTE_PGM_RSRC2:USER_SGPR: 6
; COMPUTE_PGM_RSRC2:TRAP_HANDLER: 0
; COMPUTE_PGM_RSRC2:TGID_X_EN: 1
; COMPUTE_PGM_RSRC2:TGID_Y_EN: 0
; COMPUTE_PGM_RSRC2:TGID_Z_EN: 0
; COMPUTE_PGM_RSRC2:TIDIG_COMP_CNT: 0
	.section	.text._Z16warp_load_kernelILj256ELj4ELj64ELN6hipcub17WarpLoadAlgorithmE0EdEvPT3_S3_,"axG",@progbits,_Z16warp_load_kernelILj256ELj4ELj64ELN6hipcub17WarpLoadAlgorithmE0EdEvPT3_S3_,comdat
	.protected	_Z16warp_load_kernelILj256ELj4ELj64ELN6hipcub17WarpLoadAlgorithmE0EdEvPT3_S3_ ; -- Begin function _Z16warp_load_kernelILj256ELj4ELj64ELN6hipcub17WarpLoadAlgorithmE0EdEvPT3_S3_
	.globl	_Z16warp_load_kernelILj256ELj4ELj64ELN6hipcub17WarpLoadAlgorithmE0EdEvPT3_S3_
	.p2align	8
	.type	_Z16warp_load_kernelILj256ELj4ELj64ELN6hipcub17WarpLoadAlgorithmE0EdEvPT3_S3_,@function
_Z16warp_load_kernelILj256ELj4ELj64ELN6hipcub17WarpLoadAlgorithmE0EdEvPT3_S3_: ; @_Z16warp_load_kernelILj256ELj4ELj64ELN6hipcub17WarpLoadAlgorithmE0EdEvPT3_S3_
; %bb.0:
	s_load_dwordx4 s[0:3], s[4:5], 0x0
	v_lshlrev_b32_e32 v1, 2, v0
	s_lshl_b32 s4, s6, 10
	v_mov_b32_e32 v10, 0
	v_mbcnt_lo_u32_b32 v3, -1, 0
	v_and_or_b32 v9, 0x300, v1, s4
	v_mov_b32_e32 v12, v10
	v_lshlrev_b32_e32 v3, 5, v3
	v_mov_b32_e32 v14, v10
	v_lshlrev_b64 v[1:2], 3, v[9:10]
	v_or_b32_e32 v9, s4, v0
	v_or_b32_e32 v11, 0x100, v9
	;; [unrolled: 1-line block ×3, first 2 shown]
	v_lshlrev_b64 v[15:16], 3, v[9:10]
	s_waitcnt lgkmcnt(0)
	v_add_co_u32 v1, vcc_lo, s0, v1
	v_add_co_ci_u32_e64 v2, null, s1, v2, vcc_lo
	v_or_b32_e32 v9, 0x300, v9
	v_add_co_u32 v5, vcc_lo, v1, v3
	v_add_co_ci_u32_e64 v6, null, 0, v2, vcc_lo
	v_lshlrev_b64 v[11:12], 3, v[11:12]
	v_lshlrev_b64 v[13:14], 3, v[13:14]
	;; [unrolled: 1-line block ×3, first 2 shown]
	s_clause 0x1
	global_load_dwordx4 v[1:4], v[5:6], off
	global_load_dwordx4 v[5:8], v[5:6], off offset:16
	v_add_co_u32 v15, vcc_lo, s2, v15
	v_add_co_ci_u32_e64 v16, null, s3, v16, vcc_lo
	v_add_co_u32 v11, vcc_lo, s2, v11
	v_add_co_ci_u32_e64 v12, null, s3, v12, vcc_lo
	;; [unrolled: 2-line block ×4, first 2 shown]
	s_waitcnt vmcnt(1)
	global_store_dwordx2 v[15:16], v[1:2], off
	global_store_dwordx2 v[11:12], v[3:4], off
	s_waitcnt vmcnt(0)
	global_store_dwordx2 v[13:14], v[5:6], off
	global_store_dwordx2 v[9:10], v[7:8], off
	s_endpgm
	.section	.rodata,"a",@progbits
	.p2align	6, 0x0
	.amdhsa_kernel _Z16warp_load_kernelILj256ELj4ELj64ELN6hipcub17WarpLoadAlgorithmE0EdEvPT3_S3_
		.amdhsa_group_segment_fixed_size 0
		.amdhsa_private_segment_fixed_size 0
		.amdhsa_kernarg_size 16
		.amdhsa_user_sgpr_count 6
		.amdhsa_user_sgpr_private_segment_buffer 1
		.amdhsa_user_sgpr_dispatch_ptr 0
		.amdhsa_user_sgpr_queue_ptr 0
		.amdhsa_user_sgpr_kernarg_segment_ptr 1
		.amdhsa_user_sgpr_dispatch_id 0
		.amdhsa_user_sgpr_flat_scratch_init 0
		.amdhsa_user_sgpr_private_segment_size 0
		.amdhsa_wavefront_size32 1
		.amdhsa_uses_dynamic_stack 0
		.amdhsa_system_sgpr_private_segment_wavefront_offset 0
		.amdhsa_system_sgpr_workgroup_id_x 1
		.amdhsa_system_sgpr_workgroup_id_y 0
		.amdhsa_system_sgpr_workgroup_id_z 0
		.amdhsa_system_sgpr_workgroup_info 0
		.amdhsa_system_vgpr_workitem_id 0
		.amdhsa_next_free_vgpr 17
		.amdhsa_next_free_sgpr 7
		.amdhsa_reserve_vcc 1
		.amdhsa_reserve_flat_scratch 0
		.amdhsa_float_round_mode_32 0
		.amdhsa_float_round_mode_16_64 0
		.amdhsa_float_denorm_mode_32 3
		.amdhsa_float_denorm_mode_16_64 3
		.amdhsa_dx10_clamp 1
		.amdhsa_ieee_mode 1
		.amdhsa_fp16_overflow 0
		.amdhsa_workgroup_processor_mode 1
		.amdhsa_memory_ordered 1
		.amdhsa_forward_progress 1
		.amdhsa_shared_vgpr_count 0
		.amdhsa_exception_fp_ieee_invalid_op 0
		.amdhsa_exception_fp_denorm_src 0
		.amdhsa_exception_fp_ieee_div_zero 0
		.amdhsa_exception_fp_ieee_overflow 0
		.amdhsa_exception_fp_ieee_underflow 0
		.amdhsa_exception_fp_ieee_inexact 0
		.amdhsa_exception_int_div_zero 0
	.end_amdhsa_kernel
	.section	.text._Z16warp_load_kernelILj256ELj4ELj64ELN6hipcub17WarpLoadAlgorithmE0EdEvPT3_S3_,"axG",@progbits,_Z16warp_load_kernelILj256ELj4ELj64ELN6hipcub17WarpLoadAlgorithmE0EdEvPT3_S3_,comdat
.Lfunc_end56:
	.size	_Z16warp_load_kernelILj256ELj4ELj64ELN6hipcub17WarpLoadAlgorithmE0EdEvPT3_S3_, .Lfunc_end56-_Z16warp_load_kernelILj256ELj4ELj64ELN6hipcub17WarpLoadAlgorithmE0EdEvPT3_S3_
                                        ; -- End function
	.set _Z16warp_load_kernelILj256ELj4ELj64ELN6hipcub17WarpLoadAlgorithmE0EdEvPT3_S3_.num_vgpr, 17
	.set _Z16warp_load_kernelILj256ELj4ELj64ELN6hipcub17WarpLoadAlgorithmE0EdEvPT3_S3_.num_agpr, 0
	.set _Z16warp_load_kernelILj256ELj4ELj64ELN6hipcub17WarpLoadAlgorithmE0EdEvPT3_S3_.numbered_sgpr, 7
	.set _Z16warp_load_kernelILj256ELj4ELj64ELN6hipcub17WarpLoadAlgorithmE0EdEvPT3_S3_.num_named_barrier, 0
	.set _Z16warp_load_kernelILj256ELj4ELj64ELN6hipcub17WarpLoadAlgorithmE0EdEvPT3_S3_.private_seg_size, 0
	.set _Z16warp_load_kernelILj256ELj4ELj64ELN6hipcub17WarpLoadAlgorithmE0EdEvPT3_S3_.uses_vcc, 1
	.set _Z16warp_load_kernelILj256ELj4ELj64ELN6hipcub17WarpLoadAlgorithmE0EdEvPT3_S3_.uses_flat_scratch, 0
	.set _Z16warp_load_kernelILj256ELj4ELj64ELN6hipcub17WarpLoadAlgorithmE0EdEvPT3_S3_.has_dyn_sized_stack, 0
	.set _Z16warp_load_kernelILj256ELj4ELj64ELN6hipcub17WarpLoadAlgorithmE0EdEvPT3_S3_.has_recursion, 0
	.set _Z16warp_load_kernelILj256ELj4ELj64ELN6hipcub17WarpLoadAlgorithmE0EdEvPT3_S3_.has_indirect_call, 0
	.section	.AMDGPU.csdata,"",@progbits
; Kernel info:
; codeLenInByte = 284
; TotalNumSgprs: 9
; NumVgprs: 17
; ScratchSize: 0
; MemoryBound: 0
; FloatMode: 240
; IeeeMode: 1
; LDSByteSize: 0 bytes/workgroup (compile time only)
; SGPRBlocks: 0
; VGPRBlocks: 2
; NumSGPRsForWavesPerEU: 9
; NumVGPRsForWavesPerEU: 17
; Occupancy: 16
; WaveLimiterHint : 0
; COMPUTE_PGM_RSRC2:SCRATCH_EN: 0
; COMPUTE_PGM_RSRC2:USER_SGPR: 6
; COMPUTE_PGM_RSRC2:TRAP_HANDLER: 0
; COMPUTE_PGM_RSRC2:TGID_X_EN: 1
; COMPUTE_PGM_RSRC2:TGID_Y_EN: 0
; COMPUTE_PGM_RSRC2:TGID_Z_EN: 0
; COMPUTE_PGM_RSRC2:TIDIG_COMP_CNT: 0
	.section	.text._Z16warp_load_kernelILj256ELj4ELj64ELN6hipcub17WarpLoadAlgorithmE1EdEvPT3_S3_,"axG",@progbits,_Z16warp_load_kernelILj256ELj4ELj64ELN6hipcub17WarpLoadAlgorithmE1EdEvPT3_S3_,comdat
	.protected	_Z16warp_load_kernelILj256ELj4ELj64ELN6hipcub17WarpLoadAlgorithmE1EdEvPT3_S3_ ; -- Begin function _Z16warp_load_kernelILj256ELj4ELj64ELN6hipcub17WarpLoadAlgorithmE1EdEvPT3_S3_
	.globl	_Z16warp_load_kernelILj256ELj4ELj64ELN6hipcub17WarpLoadAlgorithmE1EdEvPT3_S3_
	.p2align	8
	.type	_Z16warp_load_kernelILj256ELj4ELj64ELN6hipcub17WarpLoadAlgorithmE1EdEvPT3_S3_,@function
_Z16warp_load_kernelILj256ELj4ELj64ELN6hipcub17WarpLoadAlgorithmE1EdEvPT3_S3_: ; @_Z16warp_load_kernelILj256ELj4ELj64ELN6hipcub17WarpLoadAlgorithmE1EdEvPT3_S3_
; %bb.0:
	s_load_dwordx4 s[0:3], s[4:5], 0x0
	v_lshlrev_b32_e32 v1, 2, v0
	s_lshl_b32 s4, s6, 10
	v_mov_b32_e32 v2, 0
	v_mbcnt_lo_u32_b32 v5, -1, 0
	v_and_or_b32 v1, 0x300, v1, s4
	v_mov_b32_e32 v12, v2
	v_mov_b32_e32 v14, v2
	v_lshlrev_b64 v[3:4], 3, v[1:2]
	v_lshlrev_b32_e32 v1, 3, v5
	s_waitcnt lgkmcnt(0)
	v_add_co_u32 v3, vcc_lo, s0, v3
	v_add_co_ci_u32_e64 v4, null, s1, v4, vcc_lo
	v_add_co_u32 v3, vcc_lo, v3, v1
	v_add_co_ci_u32_e64 v4, null, 0, v4, vcc_lo
	v_or_b32_e32 v1, s4, v0
	s_clause 0x3
	global_load_dwordx2 v[5:6], v[3:4], off
	global_load_dwordx2 v[7:8], v[3:4], off offset:512
	global_load_dwordx2 v[9:10], v[3:4], off offset:1024
	;; [unrolled: 1-line block ×3, first 2 shown]
	v_or_b32_e32 v11, 0x100, v1
	v_or_b32_e32 v13, 0x200, v1
	v_lshlrev_b64 v[15:16], 3, v[1:2]
	v_or_b32_e32 v1, 0x300, v1
	v_lshlrev_b64 v[11:12], 3, v[11:12]
	v_lshlrev_b64 v[13:14], 3, v[13:14]
	;; [unrolled: 1-line block ×3, first 2 shown]
	v_add_co_u32 v15, vcc_lo, s2, v15
	v_add_co_ci_u32_e64 v16, null, s3, v16, vcc_lo
	v_add_co_u32 v11, vcc_lo, s2, v11
	v_add_co_ci_u32_e64 v12, null, s3, v12, vcc_lo
	;; [unrolled: 2-line block ×4, first 2 shown]
	s_waitcnt vmcnt(3)
	global_store_dwordx2 v[15:16], v[5:6], off
	s_waitcnt vmcnt(2)
	global_store_dwordx2 v[11:12], v[7:8], off
	;; [unrolled: 2-line block ×4, first 2 shown]
	s_endpgm
	.section	.rodata,"a",@progbits
	.p2align	6, 0x0
	.amdhsa_kernel _Z16warp_load_kernelILj256ELj4ELj64ELN6hipcub17WarpLoadAlgorithmE1EdEvPT3_S3_
		.amdhsa_group_segment_fixed_size 0
		.amdhsa_private_segment_fixed_size 0
		.amdhsa_kernarg_size 16
		.amdhsa_user_sgpr_count 6
		.amdhsa_user_sgpr_private_segment_buffer 1
		.amdhsa_user_sgpr_dispatch_ptr 0
		.amdhsa_user_sgpr_queue_ptr 0
		.amdhsa_user_sgpr_kernarg_segment_ptr 1
		.amdhsa_user_sgpr_dispatch_id 0
		.amdhsa_user_sgpr_flat_scratch_init 0
		.amdhsa_user_sgpr_private_segment_size 0
		.amdhsa_wavefront_size32 1
		.amdhsa_uses_dynamic_stack 0
		.amdhsa_system_sgpr_private_segment_wavefront_offset 0
		.amdhsa_system_sgpr_workgroup_id_x 1
		.amdhsa_system_sgpr_workgroup_id_y 0
		.amdhsa_system_sgpr_workgroup_id_z 0
		.amdhsa_system_sgpr_workgroup_info 0
		.amdhsa_system_vgpr_workitem_id 0
		.amdhsa_next_free_vgpr 17
		.amdhsa_next_free_sgpr 7
		.amdhsa_reserve_vcc 1
		.amdhsa_reserve_flat_scratch 0
		.amdhsa_float_round_mode_32 0
		.amdhsa_float_round_mode_16_64 0
		.amdhsa_float_denorm_mode_32 3
		.amdhsa_float_denorm_mode_16_64 3
		.amdhsa_dx10_clamp 1
		.amdhsa_ieee_mode 1
		.amdhsa_fp16_overflow 0
		.amdhsa_workgroup_processor_mode 1
		.amdhsa_memory_ordered 1
		.amdhsa_forward_progress 1
		.amdhsa_shared_vgpr_count 0
		.amdhsa_exception_fp_ieee_invalid_op 0
		.amdhsa_exception_fp_denorm_src 0
		.amdhsa_exception_fp_ieee_div_zero 0
		.amdhsa_exception_fp_ieee_overflow 0
		.amdhsa_exception_fp_ieee_underflow 0
		.amdhsa_exception_fp_ieee_inexact 0
		.amdhsa_exception_int_div_zero 0
	.end_amdhsa_kernel
	.section	.text._Z16warp_load_kernelILj256ELj4ELj64ELN6hipcub17WarpLoadAlgorithmE1EdEvPT3_S3_,"axG",@progbits,_Z16warp_load_kernelILj256ELj4ELj64ELN6hipcub17WarpLoadAlgorithmE1EdEvPT3_S3_,comdat
.Lfunc_end57:
	.size	_Z16warp_load_kernelILj256ELj4ELj64ELN6hipcub17WarpLoadAlgorithmE1EdEvPT3_S3_, .Lfunc_end57-_Z16warp_load_kernelILj256ELj4ELj64ELN6hipcub17WarpLoadAlgorithmE1EdEvPT3_S3_
                                        ; -- End function
	.set _Z16warp_load_kernelILj256ELj4ELj64ELN6hipcub17WarpLoadAlgorithmE1EdEvPT3_S3_.num_vgpr, 17
	.set _Z16warp_load_kernelILj256ELj4ELj64ELN6hipcub17WarpLoadAlgorithmE1EdEvPT3_S3_.num_agpr, 0
	.set _Z16warp_load_kernelILj256ELj4ELj64ELN6hipcub17WarpLoadAlgorithmE1EdEvPT3_S3_.numbered_sgpr, 7
	.set _Z16warp_load_kernelILj256ELj4ELj64ELN6hipcub17WarpLoadAlgorithmE1EdEvPT3_S3_.num_named_barrier, 0
	.set _Z16warp_load_kernelILj256ELj4ELj64ELN6hipcub17WarpLoadAlgorithmE1EdEvPT3_S3_.private_seg_size, 0
	.set _Z16warp_load_kernelILj256ELj4ELj64ELN6hipcub17WarpLoadAlgorithmE1EdEvPT3_S3_.uses_vcc, 1
	.set _Z16warp_load_kernelILj256ELj4ELj64ELN6hipcub17WarpLoadAlgorithmE1EdEvPT3_S3_.uses_flat_scratch, 0
	.set _Z16warp_load_kernelILj256ELj4ELj64ELN6hipcub17WarpLoadAlgorithmE1EdEvPT3_S3_.has_dyn_sized_stack, 0
	.set _Z16warp_load_kernelILj256ELj4ELj64ELN6hipcub17WarpLoadAlgorithmE1EdEvPT3_S3_.has_recursion, 0
	.set _Z16warp_load_kernelILj256ELj4ELj64ELN6hipcub17WarpLoadAlgorithmE1EdEvPT3_S3_.has_indirect_call, 0
	.section	.AMDGPU.csdata,"",@progbits
; Kernel info:
; codeLenInByte = 308
; TotalNumSgprs: 9
; NumVgprs: 17
; ScratchSize: 0
; MemoryBound: 0
; FloatMode: 240
; IeeeMode: 1
; LDSByteSize: 0 bytes/workgroup (compile time only)
; SGPRBlocks: 0
; VGPRBlocks: 2
; NumSGPRsForWavesPerEU: 9
; NumVGPRsForWavesPerEU: 17
; Occupancy: 16
; WaveLimiterHint : 1
; COMPUTE_PGM_RSRC2:SCRATCH_EN: 0
; COMPUTE_PGM_RSRC2:USER_SGPR: 6
; COMPUTE_PGM_RSRC2:TRAP_HANDLER: 0
; COMPUTE_PGM_RSRC2:TGID_X_EN: 1
; COMPUTE_PGM_RSRC2:TGID_Y_EN: 0
; COMPUTE_PGM_RSRC2:TGID_Z_EN: 0
; COMPUTE_PGM_RSRC2:TIDIG_COMP_CNT: 0
	.section	.text._Z16warp_load_kernelILj256ELj4ELj64ELN6hipcub17WarpLoadAlgorithmE2EdEvPT3_S3_,"axG",@progbits,_Z16warp_load_kernelILj256ELj4ELj64ELN6hipcub17WarpLoadAlgorithmE2EdEvPT3_S3_,comdat
	.protected	_Z16warp_load_kernelILj256ELj4ELj64ELN6hipcub17WarpLoadAlgorithmE2EdEvPT3_S3_ ; -- Begin function _Z16warp_load_kernelILj256ELj4ELj64ELN6hipcub17WarpLoadAlgorithmE2EdEvPT3_S3_
	.globl	_Z16warp_load_kernelILj256ELj4ELj64ELN6hipcub17WarpLoadAlgorithmE2EdEvPT3_S3_
	.p2align	8
	.type	_Z16warp_load_kernelILj256ELj4ELj64ELN6hipcub17WarpLoadAlgorithmE2EdEvPT3_S3_,@function
_Z16warp_load_kernelILj256ELj4ELj64ELN6hipcub17WarpLoadAlgorithmE2EdEvPT3_S3_: ; @_Z16warp_load_kernelILj256ELj4ELj64ELN6hipcub17WarpLoadAlgorithmE2EdEvPT3_S3_
; %bb.0:
	s_load_dwordx4 s[0:3], s[4:5], 0x0
	v_lshlrev_b32_e32 v1, 2, v0
	s_lshl_b32 s4, s6, 10
	v_mov_b32_e32 v10, 0
	v_mbcnt_lo_u32_b32 v3, -1, 0
	v_and_or_b32 v9, 0x300, v1, s4
	v_mov_b32_e32 v12, v10
	v_lshlrev_b32_e32 v3, 5, v3
	v_mov_b32_e32 v14, v10
	v_lshlrev_b64 v[1:2], 3, v[9:10]
	v_or_b32_e32 v9, s4, v0
	v_or_b32_e32 v11, 0x100, v9
	v_or_b32_e32 v13, 0x200, v9
	v_lshlrev_b64 v[15:16], 3, v[9:10]
	s_waitcnt lgkmcnt(0)
	v_add_co_u32 v1, vcc_lo, s0, v1
	v_add_co_ci_u32_e64 v2, null, s1, v2, vcc_lo
	v_or_b32_e32 v9, 0x300, v9
	v_add_co_u32 v5, vcc_lo, v1, v3
	v_add_co_ci_u32_e64 v6, null, 0, v2, vcc_lo
	v_lshlrev_b64 v[11:12], 3, v[11:12]
	v_lshlrev_b64 v[13:14], 3, v[13:14]
	;; [unrolled: 1-line block ×3, first 2 shown]
	s_clause 0x1
	global_load_dwordx4 v[1:4], v[5:6], off
	global_load_dwordx4 v[5:8], v[5:6], off offset:16
	v_add_co_u32 v15, vcc_lo, s2, v15
	v_add_co_ci_u32_e64 v16, null, s3, v16, vcc_lo
	v_add_co_u32 v11, vcc_lo, s2, v11
	v_add_co_ci_u32_e64 v12, null, s3, v12, vcc_lo
	;; [unrolled: 2-line block ×4, first 2 shown]
	s_waitcnt vmcnt(1)
	global_store_dwordx2 v[15:16], v[1:2], off
	global_store_dwordx2 v[11:12], v[3:4], off
	s_waitcnt vmcnt(0)
	global_store_dwordx2 v[13:14], v[5:6], off
	global_store_dwordx2 v[9:10], v[7:8], off
	s_endpgm
	.section	.rodata,"a",@progbits
	.p2align	6, 0x0
	.amdhsa_kernel _Z16warp_load_kernelILj256ELj4ELj64ELN6hipcub17WarpLoadAlgorithmE2EdEvPT3_S3_
		.amdhsa_group_segment_fixed_size 0
		.amdhsa_private_segment_fixed_size 0
		.amdhsa_kernarg_size 16
		.amdhsa_user_sgpr_count 6
		.amdhsa_user_sgpr_private_segment_buffer 1
		.amdhsa_user_sgpr_dispatch_ptr 0
		.amdhsa_user_sgpr_queue_ptr 0
		.amdhsa_user_sgpr_kernarg_segment_ptr 1
		.amdhsa_user_sgpr_dispatch_id 0
		.amdhsa_user_sgpr_flat_scratch_init 0
		.amdhsa_user_sgpr_private_segment_size 0
		.amdhsa_wavefront_size32 1
		.amdhsa_uses_dynamic_stack 0
		.amdhsa_system_sgpr_private_segment_wavefront_offset 0
		.amdhsa_system_sgpr_workgroup_id_x 1
		.amdhsa_system_sgpr_workgroup_id_y 0
		.amdhsa_system_sgpr_workgroup_id_z 0
		.amdhsa_system_sgpr_workgroup_info 0
		.amdhsa_system_vgpr_workitem_id 0
		.amdhsa_next_free_vgpr 17
		.amdhsa_next_free_sgpr 7
		.amdhsa_reserve_vcc 1
		.amdhsa_reserve_flat_scratch 0
		.amdhsa_float_round_mode_32 0
		.amdhsa_float_round_mode_16_64 0
		.amdhsa_float_denorm_mode_32 3
		.amdhsa_float_denorm_mode_16_64 3
		.amdhsa_dx10_clamp 1
		.amdhsa_ieee_mode 1
		.amdhsa_fp16_overflow 0
		.amdhsa_workgroup_processor_mode 1
		.amdhsa_memory_ordered 1
		.amdhsa_forward_progress 1
		.amdhsa_shared_vgpr_count 0
		.amdhsa_exception_fp_ieee_invalid_op 0
		.amdhsa_exception_fp_denorm_src 0
		.amdhsa_exception_fp_ieee_div_zero 0
		.amdhsa_exception_fp_ieee_overflow 0
		.amdhsa_exception_fp_ieee_underflow 0
		.amdhsa_exception_fp_ieee_inexact 0
		.amdhsa_exception_int_div_zero 0
	.end_amdhsa_kernel
	.section	.text._Z16warp_load_kernelILj256ELj4ELj64ELN6hipcub17WarpLoadAlgorithmE2EdEvPT3_S3_,"axG",@progbits,_Z16warp_load_kernelILj256ELj4ELj64ELN6hipcub17WarpLoadAlgorithmE2EdEvPT3_S3_,comdat
.Lfunc_end58:
	.size	_Z16warp_load_kernelILj256ELj4ELj64ELN6hipcub17WarpLoadAlgorithmE2EdEvPT3_S3_, .Lfunc_end58-_Z16warp_load_kernelILj256ELj4ELj64ELN6hipcub17WarpLoadAlgorithmE2EdEvPT3_S3_
                                        ; -- End function
	.set _Z16warp_load_kernelILj256ELj4ELj64ELN6hipcub17WarpLoadAlgorithmE2EdEvPT3_S3_.num_vgpr, 17
	.set _Z16warp_load_kernelILj256ELj4ELj64ELN6hipcub17WarpLoadAlgorithmE2EdEvPT3_S3_.num_agpr, 0
	.set _Z16warp_load_kernelILj256ELj4ELj64ELN6hipcub17WarpLoadAlgorithmE2EdEvPT3_S3_.numbered_sgpr, 7
	.set _Z16warp_load_kernelILj256ELj4ELj64ELN6hipcub17WarpLoadAlgorithmE2EdEvPT3_S3_.num_named_barrier, 0
	.set _Z16warp_load_kernelILj256ELj4ELj64ELN6hipcub17WarpLoadAlgorithmE2EdEvPT3_S3_.private_seg_size, 0
	.set _Z16warp_load_kernelILj256ELj4ELj64ELN6hipcub17WarpLoadAlgorithmE2EdEvPT3_S3_.uses_vcc, 1
	.set _Z16warp_load_kernelILj256ELj4ELj64ELN6hipcub17WarpLoadAlgorithmE2EdEvPT3_S3_.uses_flat_scratch, 0
	.set _Z16warp_load_kernelILj256ELj4ELj64ELN6hipcub17WarpLoadAlgorithmE2EdEvPT3_S3_.has_dyn_sized_stack, 0
	.set _Z16warp_load_kernelILj256ELj4ELj64ELN6hipcub17WarpLoadAlgorithmE2EdEvPT3_S3_.has_recursion, 0
	.set _Z16warp_load_kernelILj256ELj4ELj64ELN6hipcub17WarpLoadAlgorithmE2EdEvPT3_S3_.has_indirect_call, 0
	.section	.AMDGPU.csdata,"",@progbits
; Kernel info:
; codeLenInByte = 284
; TotalNumSgprs: 9
; NumVgprs: 17
; ScratchSize: 0
; MemoryBound: 0
; FloatMode: 240
; IeeeMode: 1
; LDSByteSize: 0 bytes/workgroup (compile time only)
; SGPRBlocks: 0
; VGPRBlocks: 2
; NumSGPRsForWavesPerEU: 9
; NumVGPRsForWavesPerEU: 17
; Occupancy: 16
; WaveLimiterHint : 0
; COMPUTE_PGM_RSRC2:SCRATCH_EN: 0
; COMPUTE_PGM_RSRC2:USER_SGPR: 6
; COMPUTE_PGM_RSRC2:TRAP_HANDLER: 0
; COMPUTE_PGM_RSRC2:TGID_X_EN: 1
; COMPUTE_PGM_RSRC2:TGID_Y_EN: 0
; COMPUTE_PGM_RSRC2:TGID_Z_EN: 0
; COMPUTE_PGM_RSRC2:TIDIG_COMP_CNT: 0
	.section	.text._Z16warp_load_kernelILj256ELj4ELj64ELN6hipcub17WarpLoadAlgorithmE3EdEvPT3_S3_,"axG",@progbits,_Z16warp_load_kernelILj256ELj4ELj64ELN6hipcub17WarpLoadAlgorithmE3EdEvPT3_S3_,comdat
	.protected	_Z16warp_load_kernelILj256ELj4ELj64ELN6hipcub17WarpLoadAlgorithmE3EdEvPT3_S3_ ; -- Begin function _Z16warp_load_kernelILj256ELj4ELj64ELN6hipcub17WarpLoadAlgorithmE3EdEvPT3_S3_
	.globl	_Z16warp_load_kernelILj256ELj4ELj64ELN6hipcub17WarpLoadAlgorithmE3EdEvPT3_S3_
	.p2align	8
	.type	_Z16warp_load_kernelILj256ELj4ELj64ELN6hipcub17WarpLoadAlgorithmE3EdEvPT3_S3_,@function
_Z16warp_load_kernelILj256ELj4ELj64ELN6hipcub17WarpLoadAlgorithmE3EdEvPT3_S3_: ; @_Z16warp_load_kernelILj256ELj4ELj64ELN6hipcub17WarpLoadAlgorithmE3EdEvPT3_S3_
; %bb.0:
	s_load_dwordx4 s[0:3], s[4:5], 0x0
	v_lshrrev_b32_e32 v3, 6, v0
	s_lshl_b32 s4, s6, 10
	v_mov_b32_e32 v5, 0
	v_mbcnt_lo_u32_b32 v16, -1, 0
	v_lshl_or_b32 v4, v3, 8, s4
	v_lshlrev_b32_e32 v3, 11, v3
	v_mov_b32_e32 v13, v5
	v_lshlrev_b32_e32 v12, 3, v16
	v_mov_b32_e32 v15, v5
	v_lshlrev_b64 v[1:2], 3, v[4:5]
	v_or_b32_e32 v4, s4, v0
	v_lshl_or_b32 v18, v16, 5, v3
	v_or_b32_e32 v0, v3, v12
	v_or_b32_e32 v14, 0x200, v4
	v_lshlrev_b64 v[16:17], 3, v[4:5]
	s_waitcnt lgkmcnt(0)
	v_add_co_u32 v1, vcc_lo, s0, v1
	v_add_co_ci_u32_e64 v2, null, s1, v2, vcc_lo
	v_lshlrev_b64 v[14:15], 3, v[14:15]
	v_add_co_u32 v1, vcc_lo, v1, v12
	v_add_co_ci_u32_e64 v2, null, 0, v2, vcc_lo
	v_or_b32_e32 v12, 0x100, v4
	v_or_b32_e32 v4, 0x300, v4
	s_clause 0x3
	global_load_dwordx2 v[6:7], v[1:2], off
	global_load_dwordx2 v[8:9], v[1:2], off offset:512
	global_load_dwordx2 v[10:11], v[1:2], off offset:1024
	;; [unrolled: 1-line block ×3, first 2 shown]
	s_waitcnt vmcnt(2)
	ds_write2st64_b64 v0, v[6:7], v[8:9] offset1:1
	s_waitcnt vmcnt(0)
	ds_write2st64_b64 v0, v[10:11], v[1:2] offset0:2 offset1:3
	; wave barrier
	ds_read_b128 v[0:3], v18
	v_lshlrev_b64 v[8:9], 3, v[4:5]
	ds_read_b128 v[4:7], v18 offset:16
	v_lshlrev_b64 v[12:13], 3, v[12:13]
	v_add_co_u32 v10, vcc_lo, s2, v16
	v_add_co_ci_u32_e64 v11, null, s3, v17, vcc_lo
	v_add_co_u32 v12, vcc_lo, s2, v12
	v_add_co_ci_u32_e64 v13, null, s3, v13, vcc_lo
	;; [unrolled: 2-line block ×4, first 2 shown]
	s_waitcnt lgkmcnt(1)
	global_store_dwordx2 v[10:11], v[0:1], off
	global_store_dwordx2 v[12:13], v[2:3], off
	s_waitcnt lgkmcnt(0)
	global_store_dwordx2 v[14:15], v[4:5], off
	global_store_dwordx2 v[8:9], v[6:7], off
	s_endpgm
	.section	.rodata,"a",@progbits
	.p2align	6, 0x0
	.amdhsa_kernel _Z16warp_load_kernelILj256ELj4ELj64ELN6hipcub17WarpLoadAlgorithmE3EdEvPT3_S3_
		.amdhsa_group_segment_fixed_size 8192
		.amdhsa_private_segment_fixed_size 0
		.amdhsa_kernarg_size 16
		.amdhsa_user_sgpr_count 6
		.amdhsa_user_sgpr_private_segment_buffer 1
		.amdhsa_user_sgpr_dispatch_ptr 0
		.amdhsa_user_sgpr_queue_ptr 0
		.amdhsa_user_sgpr_kernarg_segment_ptr 1
		.amdhsa_user_sgpr_dispatch_id 0
		.amdhsa_user_sgpr_flat_scratch_init 0
		.amdhsa_user_sgpr_private_segment_size 0
		.amdhsa_wavefront_size32 1
		.amdhsa_uses_dynamic_stack 0
		.amdhsa_system_sgpr_private_segment_wavefront_offset 0
		.amdhsa_system_sgpr_workgroup_id_x 1
		.amdhsa_system_sgpr_workgroup_id_y 0
		.amdhsa_system_sgpr_workgroup_id_z 0
		.amdhsa_system_sgpr_workgroup_info 0
		.amdhsa_system_vgpr_workitem_id 0
		.amdhsa_next_free_vgpr 19
		.amdhsa_next_free_sgpr 7
		.amdhsa_reserve_vcc 1
		.amdhsa_reserve_flat_scratch 0
		.amdhsa_float_round_mode_32 0
		.amdhsa_float_round_mode_16_64 0
		.amdhsa_float_denorm_mode_32 3
		.amdhsa_float_denorm_mode_16_64 3
		.amdhsa_dx10_clamp 1
		.amdhsa_ieee_mode 1
		.amdhsa_fp16_overflow 0
		.amdhsa_workgroup_processor_mode 1
		.amdhsa_memory_ordered 1
		.amdhsa_forward_progress 1
		.amdhsa_shared_vgpr_count 0
		.amdhsa_exception_fp_ieee_invalid_op 0
		.amdhsa_exception_fp_denorm_src 0
		.amdhsa_exception_fp_ieee_div_zero 0
		.amdhsa_exception_fp_ieee_overflow 0
		.amdhsa_exception_fp_ieee_underflow 0
		.amdhsa_exception_fp_ieee_inexact 0
		.amdhsa_exception_int_div_zero 0
	.end_amdhsa_kernel
	.section	.text._Z16warp_load_kernelILj256ELj4ELj64ELN6hipcub17WarpLoadAlgorithmE3EdEvPT3_S3_,"axG",@progbits,_Z16warp_load_kernelILj256ELj4ELj64ELN6hipcub17WarpLoadAlgorithmE3EdEvPT3_S3_,comdat
.Lfunc_end59:
	.size	_Z16warp_load_kernelILj256ELj4ELj64ELN6hipcub17WarpLoadAlgorithmE3EdEvPT3_S3_, .Lfunc_end59-_Z16warp_load_kernelILj256ELj4ELj64ELN6hipcub17WarpLoadAlgorithmE3EdEvPT3_S3_
                                        ; -- End function
	.set _Z16warp_load_kernelILj256ELj4ELj64ELN6hipcub17WarpLoadAlgorithmE3EdEvPT3_S3_.num_vgpr, 19
	.set _Z16warp_load_kernelILj256ELj4ELj64ELN6hipcub17WarpLoadAlgorithmE3EdEvPT3_S3_.num_agpr, 0
	.set _Z16warp_load_kernelILj256ELj4ELj64ELN6hipcub17WarpLoadAlgorithmE3EdEvPT3_S3_.numbered_sgpr, 7
	.set _Z16warp_load_kernelILj256ELj4ELj64ELN6hipcub17WarpLoadAlgorithmE3EdEvPT3_S3_.num_named_barrier, 0
	.set _Z16warp_load_kernelILj256ELj4ELj64ELN6hipcub17WarpLoadAlgorithmE3EdEvPT3_S3_.private_seg_size, 0
	.set _Z16warp_load_kernelILj256ELj4ELj64ELN6hipcub17WarpLoadAlgorithmE3EdEvPT3_S3_.uses_vcc, 1
	.set _Z16warp_load_kernelILj256ELj4ELj64ELN6hipcub17WarpLoadAlgorithmE3EdEvPT3_S3_.uses_flat_scratch, 0
	.set _Z16warp_load_kernelILj256ELj4ELj64ELN6hipcub17WarpLoadAlgorithmE3EdEvPT3_S3_.has_dyn_sized_stack, 0
	.set _Z16warp_load_kernelILj256ELj4ELj64ELN6hipcub17WarpLoadAlgorithmE3EdEvPT3_S3_.has_recursion, 0
	.set _Z16warp_load_kernelILj256ELj4ELj64ELN6hipcub17WarpLoadAlgorithmE3EdEvPT3_S3_.has_indirect_call, 0
	.section	.AMDGPU.csdata,"",@progbits
; Kernel info:
; codeLenInByte = 352
; TotalNumSgprs: 9
; NumVgprs: 19
; ScratchSize: 0
; MemoryBound: 1
; FloatMode: 240
; IeeeMode: 1
; LDSByteSize: 8192 bytes/workgroup (compile time only)
; SGPRBlocks: 0
; VGPRBlocks: 2
; NumSGPRsForWavesPerEU: 9
; NumVGPRsForWavesPerEU: 19
; Occupancy: 16
; WaveLimiterHint : 1
; COMPUTE_PGM_RSRC2:SCRATCH_EN: 0
; COMPUTE_PGM_RSRC2:USER_SGPR: 6
; COMPUTE_PGM_RSRC2:TRAP_HANDLER: 0
; COMPUTE_PGM_RSRC2:TGID_X_EN: 1
; COMPUTE_PGM_RSRC2:TGID_Y_EN: 0
; COMPUTE_PGM_RSRC2:TGID_Z_EN: 0
; COMPUTE_PGM_RSRC2:TIDIG_COMP_CNT: 0
	.section	.text._Z16warp_load_kernelILj256ELj8ELj64ELN6hipcub17WarpLoadAlgorithmE0EdEvPT3_S3_,"axG",@progbits,_Z16warp_load_kernelILj256ELj8ELj64ELN6hipcub17WarpLoadAlgorithmE0EdEvPT3_S3_,comdat
	.protected	_Z16warp_load_kernelILj256ELj8ELj64ELN6hipcub17WarpLoadAlgorithmE0EdEvPT3_S3_ ; -- Begin function _Z16warp_load_kernelILj256ELj8ELj64ELN6hipcub17WarpLoadAlgorithmE0EdEvPT3_S3_
	.globl	_Z16warp_load_kernelILj256ELj8ELj64ELN6hipcub17WarpLoadAlgorithmE0EdEvPT3_S3_
	.p2align	8
	.type	_Z16warp_load_kernelILj256ELj8ELj64ELN6hipcub17WarpLoadAlgorithmE0EdEvPT3_S3_,@function
_Z16warp_load_kernelILj256ELj8ELj64ELN6hipcub17WarpLoadAlgorithmE0EdEvPT3_S3_: ; @_Z16warp_load_kernelILj256ELj8ELj64ELN6hipcub17WarpLoadAlgorithmE0EdEvPT3_S3_
; %bb.0:
	s_load_dwordx4 s[0:3], s[4:5], 0x0
	v_lshlrev_b32_e32 v1, 3, v0
	s_lshl_b32 s4, s6, 11
	v_mov_b32_e32 v18, 0
	v_mbcnt_lo_u32_b32 v3, -1, 0
	v_and_or_b32 v17, 0x600, v1, s4
	v_mov_b32_e32 v20, v18
	v_lshlrev_b32_e32 v3, 6, v3
	v_mov_b32_e32 v22, v18
	v_lshlrev_b64 v[1:2], 3, v[17:18]
	v_or_b32_e32 v17, s4, v0
	v_mov_b32_e32 v24, v18
	v_mov_b32_e32 v26, v18
	;; [unrolled: 1-line block ×4, first 2 shown]
	v_or_b32_e32 v19, 0x100, v17
	v_or_b32_e32 v21, 0x200, v17
	v_lshlrev_b64 v[31:32], 3, v[17:18]
	s_waitcnt lgkmcnt(0)
	v_add_co_u32 v1, vcc_lo, s0, v1
	v_add_co_ci_u32_e64 v2, null, s1, v2, vcc_lo
	v_or_b32_e32 v23, 0x300, v17
	v_add_co_u32 v13, vcc_lo, v1, v3
	v_add_co_ci_u32_e64 v14, null, 0, v2, vcc_lo
	v_lshlrev_b64 v[19:20], 3, v[19:20]
	v_or_b32_e32 v25, 0x400, v17
	v_lshlrev_b64 v[21:22], 3, v[21:22]
	s_clause 0x3
	global_load_dwordx4 v[1:4], v[13:14], off
	global_load_dwordx4 v[5:8], v[13:14], off offset:16
	global_load_dwordx4 v[9:12], v[13:14], off offset:32
	global_load_dwordx4 v[13:16], v[13:14], off offset:48
	v_or_b32_e32 v27, 0x500, v17
	v_lshlrev_b64 v[23:24], 3, v[23:24]
	v_add_co_u32 v31, vcc_lo, s2, v31
	v_or_b32_e32 v29, 0x600, v17
	v_lshlrev_b64 v[25:26], 3, v[25:26]
	v_add_co_ci_u32_e64 v32, null, s3, v32, vcc_lo
	v_add_co_u32 v19, vcc_lo, s2, v19
	v_or_b32_e32 v17, 0x700, v17
	v_lshlrev_b64 v[27:28], 3, v[27:28]
	v_add_co_ci_u32_e64 v20, null, s3, v20, vcc_lo
	v_add_co_u32 v21, vcc_lo, s2, v21
	v_lshlrev_b64 v[29:30], 3, v[29:30]
	v_add_co_ci_u32_e64 v22, null, s3, v22, vcc_lo
	v_add_co_u32 v23, vcc_lo, s2, v23
	;; [unrolled: 3-line block ×3, first 2 shown]
	v_add_co_ci_u32_e64 v26, null, s3, v26, vcc_lo
	v_add_co_u32 v27, vcc_lo, s2, v27
	v_add_co_ci_u32_e64 v28, null, s3, v28, vcc_lo
	v_add_co_u32 v29, vcc_lo, s2, v29
	;; [unrolled: 2-line block ×3, first 2 shown]
	v_add_co_ci_u32_e64 v18, null, s3, v18, vcc_lo
	s_waitcnt vmcnt(3)
	global_store_dwordx2 v[31:32], v[1:2], off
	global_store_dwordx2 v[19:20], v[3:4], off
	s_waitcnt vmcnt(2)
	global_store_dwordx2 v[21:22], v[5:6], off
	global_store_dwordx2 v[23:24], v[7:8], off
	;; [unrolled: 3-line block ×4, first 2 shown]
	s_endpgm
	.section	.rodata,"a",@progbits
	.p2align	6, 0x0
	.amdhsa_kernel _Z16warp_load_kernelILj256ELj8ELj64ELN6hipcub17WarpLoadAlgorithmE0EdEvPT3_S3_
		.amdhsa_group_segment_fixed_size 0
		.amdhsa_private_segment_fixed_size 0
		.amdhsa_kernarg_size 16
		.amdhsa_user_sgpr_count 6
		.amdhsa_user_sgpr_private_segment_buffer 1
		.amdhsa_user_sgpr_dispatch_ptr 0
		.amdhsa_user_sgpr_queue_ptr 0
		.amdhsa_user_sgpr_kernarg_segment_ptr 1
		.amdhsa_user_sgpr_dispatch_id 0
		.amdhsa_user_sgpr_flat_scratch_init 0
		.amdhsa_user_sgpr_private_segment_size 0
		.amdhsa_wavefront_size32 1
		.amdhsa_uses_dynamic_stack 0
		.amdhsa_system_sgpr_private_segment_wavefront_offset 0
		.amdhsa_system_sgpr_workgroup_id_x 1
		.amdhsa_system_sgpr_workgroup_id_y 0
		.amdhsa_system_sgpr_workgroup_id_z 0
		.amdhsa_system_sgpr_workgroup_info 0
		.amdhsa_system_vgpr_workitem_id 0
		.amdhsa_next_free_vgpr 33
		.amdhsa_next_free_sgpr 7
		.amdhsa_reserve_vcc 1
		.amdhsa_reserve_flat_scratch 0
		.amdhsa_float_round_mode_32 0
		.amdhsa_float_round_mode_16_64 0
		.amdhsa_float_denorm_mode_32 3
		.amdhsa_float_denorm_mode_16_64 3
		.amdhsa_dx10_clamp 1
		.amdhsa_ieee_mode 1
		.amdhsa_fp16_overflow 0
		.amdhsa_workgroup_processor_mode 1
		.amdhsa_memory_ordered 1
		.amdhsa_forward_progress 1
		.amdhsa_shared_vgpr_count 0
		.amdhsa_exception_fp_ieee_invalid_op 0
		.amdhsa_exception_fp_denorm_src 0
		.amdhsa_exception_fp_ieee_div_zero 0
		.amdhsa_exception_fp_ieee_overflow 0
		.amdhsa_exception_fp_ieee_underflow 0
		.amdhsa_exception_fp_ieee_inexact 0
		.amdhsa_exception_int_div_zero 0
	.end_amdhsa_kernel
	.section	.text._Z16warp_load_kernelILj256ELj8ELj64ELN6hipcub17WarpLoadAlgorithmE0EdEvPT3_S3_,"axG",@progbits,_Z16warp_load_kernelILj256ELj8ELj64ELN6hipcub17WarpLoadAlgorithmE0EdEvPT3_S3_,comdat
.Lfunc_end60:
	.size	_Z16warp_load_kernelILj256ELj8ELj64ELN6hipcub17WarpLoadAlgorithmE0EdEvPT3_S3_, .Lfunc_end60-_Z16warp_load_kernelILj256ELj8ELj64ELN6hipcub17WarpLoadAlgorithmE0EdEvPT3_S3_
                                        ; -- End function
	.set _Z16warp_load_kernelILj256ELj8ELj64ELN6hipcub17WarpLoadAlgorithmE0EdEvPT3_S3_.num_vgpr, 33
	.set _Z16warp_load_kernelILj256ELj8ELj64ELN6hipcub17WarpLoadAlgorithmE0EdEvPT3_S3_.num_agpr, 0
	.set _Z16warp_load_kernelILj256ELj8ELj64ELN6hipcub17WarpLoadAlgorithmE0EdEvPT3_S3_.numbered_sgpr, 7
	.set _Z16warp_load_kernelILj256ELj8ELj64ELN6hipcub17WarpLoadAlgorithmE0EdEvPT3_S3_.num_named_barrier, 0
	.set _Z16warp_load_kernelILj256ELj8ELj64ELN6hipcub17WarpLoadAlgorithmE0EdEvPT3_S3_.private_seg_size, 0
	.set _Z16warp_load_kernelILj256ELj8ELj64ELN6hipcub17WarpLoadAlgorithmE0EdEvPT3_S3_.uses_vcc, 1
	.set _Z16warp_load_kernelILj256ELj8ELj64ELN6hipcub17WarpLoadAlgorithmE0EdEvPT3_S3_.uses_flat_scratch, 0
	.set _Z16warp_load_kernelILj256ELj8ELj64ELN6hipcub17WarpLoadAlgorithmE0EdEvPT3_S3_.has_dyn_sized_stack, 0
	.set _Z16warp_load_kernelILj256ELj8ELj64ELN6hipcub17WarpLoadAlgorithmE0EdEvPT3_S3_.has_recursion, 0
	.set _Z16warp_load_kernelILj256ELj8ELj64ELN6hipcub17WarpLoadAlgorithmE0EdEvPT3_S3_.has_indirect_call, 0
	.section	.AMDGPU.csdata,"",@progbits
; Kernel info:
; codeLenInByte = 484
; TotalNumSgprs: 9
; NumVgprs: 33
; ScratchSize: 0
; MemoryBound: 0
; FloatMode: 240
; IeeeMode: 1
; LDSByteSize: 0 bytes/workgroup (compile time only)
; SGPRBlocks: 0
; VGPRBlocks: 4
; NumSGPRsForWavesPerEU: 9
; NumVGPRsForWavesPerEU: 33
; Occupancy: 16
; WaveLimiterHint : 0
; COMPUTE_PGM_RSRC2:SCRATCH_EN: 0
; COMPUTE_PGM_RSRC2:USER_SGPR: 6
; COMPUTE_PGM_RSRC2:TRAP_HANDLER: 0
; COMPUTE_PGM_RSRC2:TGID_X_EN: 1
; COMPUTE_PGM_RSRC2:TGID_Y_EN: 0
; COMPUTE_PGM_RSRC2:TGID_Z_EN: 0
; COMPUTE_PGM_RSRC2:TIDIG_COMP_CNT: 0
	.section	.text._Z16warp_load_kernelILj256ELj8ELj64ELN6hipcub17WarpLoadAlgorithmE1EdEvPT3_S3_,"axG",@progbits,_Z16warp_load_kernelILj256ELj8ELj64ELN6hipcub17WarpLoadAlgorithmE1EdEvPT3_S3_,comdat
	.protected	_Z16warp_load_kernelILj256ELj8ELj64ELN6hipcub17WarpLoadAlgorithmE1EdEvPT3_S3_ ; -- Begin function _Z16warp_load_kernelILj256ELj8ELj64ELN6hipcub17WarpLoadAlgorithmE1EdEvPT3_S3_
	.globl	_Z16warp_load_kernelILj256ELj8ELj64ELN6hipcub17WarpLoadAlgorithmE1EdEvPT3_S3_
	.p2align	8
	.type	_Z16warp_load_kernelILj256ELj8ELj64ELN6hipcub17WarpLoadAlgorithmE1EdEvPT3_S3_,@function
_Z16warp_load_kernelILj256ELj8ELj64ELN6hipcub17WarpLoadAlgorithmE1EdEvPT3_S3_: ; @_Z16warp_load_kernelILj256ELj8ELj64ELN6hipcub17WarpLoadAlgorithmE1EdEvPT3_S3_
; %bb.0:
	s_load_dwordx4 s[0:3], s[4:5], 0x0
	v_lshlrev_b32_e32 v1, 3, v0
	s_lshl_b32 s4, s6, 11
	v_mov_b32_e32 v2, 0
	v_mbcnt_lo_u32_b32 v5, -1, 0
	v_and_or_b32 v1, 0x600, v1, s4
	v_mov_b32_e32 v20, v2
	v_mov_b32_e32 v22, v2
	;; [unrolled: 1-line block ×3, first 2 shown]
	v_lshlrev_b64 v[3:4], 3, v[1:2]
	v_lshlrev_b32_e32 v1, 3, v5
	v_mov_b32_e32 v26, v2
	v_mov_b32_e32 v28, v2
	;; [unrolled: 1-line block ×3, first 2 shown]
	s_waitcnt lgkmcnt(0)
	v_add_co_u32 v3, vcc_lo, s0, v3
	v_add_co_ci_u32_e64 v4, null, s1, v4, vcc_lo
	v_add_co_u32 v3, vcc_lo, v3, v1
	v_add_co_ci_u32_e64 v4, null, 0, v4, vcc_lo
	v_or_b32_e32 v1, s4, v0
	v_add_co_u32 v5, vcc_lo, 0x800, v3
	v_add_co_ci_u32_e64 v6, null, 0, v4, vcc_lo
	s_clause 0x7
	global_load_dwordx2 v[7:8], v[3:4], off
	global_load_dwordx2 v[9:10], v[3:4], off offset:512
	global_load_dwordx2 v[11:12], v[3:4], off offset:1024
	global_load_dwordx2 v[3:4], v[3:4], off offset:1536
	global_load_dwordx2 v[13:14], v[5:6], off
	global_load_dwordx2 v[15:16], v[5:6], off offset:512
	global_load_dwordx2 v[17:18], v[5:6], off offset:1024
	;; [unrolled: 1-line block ×3, first 2 shown]
	v_or_b32_e32 v19, 0x100, v1
	v_or_b32_e32 v21, 0x200, v1
	v_lshlrev_b64 v[31:32], 3, v[1:2]
	v_or_b32_e32 v23, 0x300, v1
	v_or_b32_e32 v25, 0x400, v1
	v_lshlrev_b64 v[19:20], 3, v[19:20]
	v_lshlrev_b64 v[21:22], 3, v[21:22]
	v_or_b32_e32 v27, 0x500, v1
	v_lshlrev_b64 v[23:24], 3, v[23:24]
	v_add_co_u32 v31, vcc_lo, s2, v31
	v_or_b32_e32 v29, 0x600, v1
	v_lshlrev_b64 v[25:26], 3, v[25:26]
	v_add_co_ci_u32_e64 v32, null, s3, v32, vcc_lo
	v_add_co_u32 v19, vcc_lo, s2, v19
	v_or_b32_e32 v1, 0x700, v1
	v_lshlrev_b64 v[27:28], 3, v[27:28]
	v_add_co_ci_u32_e64 v20, null, s3, v20, vcc_lo
	v_add_co_u32 v21, vcc_lo, s2, v21
	v_lshlrev_b64 v[29:30], 3, v[29:30]
	v_add_co_ci_u32_e64 v22, null, s3, v22, vcc_lo
	v_add_co_u32 v23, vcc_lo, s2, v23
	;; [unrolled: 3-line block ×3, first 2 shown]
	v_add_co_ci_u32_e64 v26, null, s3, v26, vcc_lo
	v_add_co_u32 v27, vcc_lo, s2, v27
	v_add_co_ci_u32_e64 v28, null, s3, v28, vcc_lo
	v_add_co_u32 v29, vcc_lo, s2, v29
	;; [unrolled: 2-line block ×3, first 2 shown]
	v_add_co_ci_u32_e64 v1, null, s3, v1, vcc_lo
	s_waitcnt vmcnt(7)
	global_store_dwordx2 v[31:32], v[7:8], off
	s_waitcnt vmcnt(6)
	global_store_dwordx2 v[19:20], v[9:10], off
	;; [unrolled: 2-line block ×8, first 2 shown]
	s_endpgm
	.section	.rodata,"a",@progbits
	.p2align	6, 0x0
	.amdhsa_kernel _Z16warp_load_kernelILj256ELj8ELj64ELN6hipcub17WarpLoadAlgorithmE1EdEvPT3_S3_
		.amdhsa_group_segment_fixed_size 0
		.amdhsa_private_segment_fixed_size 0
		.amdhsa_kernarg_size 16
		.amdhsa_user_sgpr_count 6
		.amdhsa_user_sgpr_private_segment_buffer 1
		.amdhsa_user_sgpr_dispatch_ptr 0
		.amdhsa_user_sgpr_queue_ptr 0
		.amdhsa_user_sgpr_kernarg_segment_ptr 1
		.amdhsa_user_sgpr_dispatch_id 0
		.amdhsa_user_sgpr_flat_scratch_init 0
		.amdhsa_user_sgpr_private_segment_size 0
		.amdhsa_wavefront_size32 1
		.amdhsa_uses_dynamic_stack 0
		.amdhsa_system_sgpr_private_segment_wavefront_offset 0
		.amdhsa_system_sgpr_workgroup_id_x 1
		.amdhsa_system_sgpr_workgroup_id_y 0
		.amdhsa_system_sgpr_workgroup_id_z 0
		.amdhsa_system_sgpr_workgroup_info 0
		.amdhsa_system_vgpr_workitem_id 0
		.amdhsa_next_free_vgpr 33
		.amdhsa_next_free_sgpr 7
		.amdhsa_reserve_vcc 1
		.amdhsa_reserve_flat_scratch 0
		.amdhsa_float_round_mode_32 0
		.amdhsa_float_round_mode_16_64 0
		.amdhsa_float_denorm_mode_32 3
		.amdhsa_float_denorm_mode_16_64 3
		.amdhsa_dx10_clamp 1
		.amdhsa_ieee_mode 1
		.amdhsa_fp16_overflow 0
		.amdhsa_workgroup_processor_mode 1
		.amdhsa_memory_ordered 1
		.amdhsa_forward_progress 1
		.amdhsa_shared_vgpr_count 0
		.amdhsa_exception_fp_ieee_invalid_op 0
		.amdhsa_exception_fp_denorm_src 0
		.amdhsa_exception_fp_ieee_div_zero 0
		.amdhsa_exception_fp_ieee_overflow 0
		.amdhsa_exception_fp_ieee_underflow 0
		.amdhsa_exception_fp_ieee_inexact 0
		.amdhsa_exception_int_div_zero 0
	.end_amdhsa_kernel
	.section	.text._Z16warp_load_kernelILj256ELj8ELj64ELN6hipcub17WarpLoadAlgorithmE1EdEvPT3_S3_,"axG",@progbits,_Z16warp_load_kernelILj256ELj8ELj64ELN6hipcub17WarpLoadAlgorithmE1EdEvPT3_S3_,comdat
.Lfunc_end61:
	.size	_Z16warp_load_kernelILj256ELj8ELj64ELN6hipcub17WarpLoadAlgorithmE1EdEvPT3_S3_, .Lfunc_end61-_Z16warp_load_kernelILj256ELj8ELj64ELN6hipcub17WarpLoadAlgorithmE1EdEvPT3_S3_
                                        ; -- End function
	.set _Z16warp_load_kernelILj256ELj8ELj64ELN6hipcub17WarpLoadAlgorithmE1EdEvPT3_S3_.num_vgpr, 33
	.set _Z16warp_load_kernelILj256ELj8ELj64ELN6hipcub17WarpLoadAlgorithmE1EdEvPT3_S3_.num_agpr, 0
	.set _Z16warp_load_kernelILj256ELj8ELj64ELN6hipcub17WarpLoadAlgorithmE1EdEvPT3_S3_.numbered_sgpr, 7
	.set _Z16warp_load_kernelILj256ELj8ELj64ELN6hipcub17WarpLoadAlgorithmE1EdEvPT3_S3_.num_named_barrier, 0
	.set _Z16warp_load_kernelILj256ELj8ELj64ELN6hipcub17WarpLoadAlgorithmE1EdEvPT3_S3_.private_seg_size, 0
	.set _Z16warp_load_kernelILj256ELj8ELj64ELN6hipcub17WarpLoadAlgorithmE1EdEvPT3_S3_.uses_vcc, 1
	.set _Z16warp_load_kernelILj256ELj8ELj64ELN6hipcub17WarpLoadAlgorithmE1EdEvPT3_S3_.uses_flat_scratch, 0
	.set _Z16warp_load_kernelILj256ELj8ELj64ELN6hipcub17WarpLoadAlgorithmE1EdEvPT3_S3_.has_dyn_sized_stack, 0
	.set _Z16warp_load_kernelILj256ELj8ELj64ELN6hipcub17WarpLoadAlgorithmE1EdEvPT3_S3_.has_recursion, 0
	.set _Z16warp_load_kernelILj256ELj8ELj64ELN6hipcub17WarpLoadAlgorithmE1EdEvPT3_S3_.has_indirect_call, 0
	.section	.AMDGPU.csdata,"",@progbits
; Kernel info:
; codeLenInByte = 552
; TotalNumSgprs: 9
; NumVgprs: 33
; ScratchSize: 0
; MemoryBound: 0
; FloatMode: 240
; IeeeMode: 1
; LDSByteSize: 0 bytes/workgroup (compile time only)
; SGPRBlocks: 0
; VGPRBlocks: 4
; NumSGPRsForWavesPerEU: 9
; NumVGPRsForWavesPerEU: 33
; Occupancy: 16
; WaveLimiterHint : 1
; COMPUTE_PGM_RSRC2:SCRATCH_EN: 0
; COMPUTE_PGM_RSRC2:USER_SGPR: 6
; COMPUTE_PGM_RSRC2:TRAP_HANDLER: 0
; COMPUTE_PGM_RSRC2:TGID_X_EN: 1
; COMPUTE_PGM_RSRC2:TGID_Y_EN: 0
; COMPUTE_PGM_RSRC2:TGID_Z_EN: 0
; COMPUTE_PGM_RSRC2:TIDIG_COMP_CNT: 0
	.section	.text._Z16warp_load_kernelILj256ELj8ELj64ELN6hipcub17WarpLoadAlgorithmE2EdEvPT3_S3_,"axG",@progbits,_Z16warp_load_kernelILj256ELj8ELj64ELN6hipcub17WarpLoadAlgorithmE2EdEvPT3_S3_,comdat
	.protected	_Z16warp_load_kernelILj256ELj8ELj64ELN6hipcub17WarpLoadAlgorithmE2EdEvPT3_S3_ ; -- Begin function _Z16warp_load_kernelILj256ELj8ELj64ELN6hipcub17WarpLoadAlgorithmE2EdEvPT3_S3_
	.globl	_Z16warp_load_kernelILj256ELj8ELj64ELN6hipcub17WarpLoadAlgorithmE2EdEvPT3_S3_
	.p2align	8
	.type	_Z16warp_load_kernelILj256ELj8ELj64ELN6hipcub17WarpLoadAlgorithmE2EdEvPT3_S3_,@function
_Z16warp_load_kernelILj256ELj8ELj64ELN6hipcub17WarpLoadAlgorithmE2EdEvPT3_S3_: ; @_Z16warp_load_kernelILj256ELj8ELj64ELN6hipcub17WarpLoadAlgorithmE2EdEvPT3_S3_
; %bb.0:
	s_load_dwordx4 s[0:3], s[4:5], 0x0
	v_lshlrev_b32_e32 v1, 3, v0
	s_lshl_b32 s4, s6, 11
	v_mov_b32_e32 v18, 0
	v_mbcnt_lo_u32_b32 v3, -1, 0
	v_and_or_b32 v17, 0x600, v1, s4
	v_mov_b32_e32 v20, v18
	v_lshlrev_b32_e32 v3, 6, v3
	v_mov_b32_e32 v22, v18
	v_lshlrev_b64 v[1:2], 3, v[17:18]
	v_or_b32_e32 v17, s4, v0
	v_mov_b32_e32 v24, v18
	v_mov_b32_e32 v26, v18
	v_mov_b32_e32 v28, v18
	v_mov_b32_e32 v30, v18
	v_or_b32_e32 v19, 0x100, v17
	v_or_b32_e32 v21, 0x200, v17
	v_lshlrev_b64 v[31:32], 3, v[17:18]
	s_waitcnt lgkmcnt(0)
	v_add_co_u32 v1, vcc_lo, s0, v1
	v_add_co_ci_u32_e64 v2, null, s1, v2, vcc_lo
	v_or_b32_e32 v23, 0x300, v17
	v_add_co_u32 v13, vcc_lo, v1, v3
	v_add_co_ci_u32_e64 v14, null, 0, v2, vcc_lo
	v_lshlrev_b64 v[19:20], 3, v[19:20]
	v_or_b32_e32 v25, 0x400, v17
	v_lshlrev_b64 v[21:22], 3, v[21:22]
	s_clause 0x3
	global_load_dwordx4 v[1:4], v[13:14], off
	global_load_dwordx4 v[5:8], v[13:14], off offset:16
	global_load_dwordx4 v[9:12], v[13:14], off offset:32
	global_load_dwordx4 v[13:16], v[13:14], off offset:48
	v_or_b32_e32 v27, 0x500, v17
	v_lshlrev_b64 v[23:24], 3, v[23:24]
	v_add_co_u32 v31, vcc_lo, s2, v31
	v_or_b32_e32 v29, 0x600, v17
	v_lshlrev_b64 v[25:26], 3, v[25:26]
	v_add_co_ci_u32_e64 v32, null, s3, v32, vcc_lo
	v_add_co_u32 v19, vcc_lo, s2, v19
	v_or_b32_e32 v17, 0x700, v17
	v_lshlrev_b64 v[27:28], 3, v[27:28]
	v_add_co_ci_u32_e64 v20, null, s3, v20, vcc_lo
	v_add_co_u32 v21, vcc_lo, s2, v21
	v_lshlrev_b64 v[29:30], 3, v[29:30]
	v_add_co_ci_u32_e64 v22, null, s3, v22, vcc_lo
	v_add_co_u32 v23, vcc_lo, s2, v23
	;; [unrolled: 3-line block ×3, first 2 shown]
	v_add_co_ci_u32_e64 v26, null, s3, v26, vcc_lo
	v_add_co_u32 v27, vcc_lo, s2, v27
	v_add_co_ci_u32_e64 v28, null, s3, v28, vcc_lo
	v_add_co_u32 v29, vcc_lo, s2, v29
	;; [unrolled: 2-line block ×3, first 2 shown]
	v_add_co_ci_u32_e64 v18, null, s3, v18, vcc_lo
	s_waitcnt vmcnt(3)
	global_store_dwordx2 v[31:32], v[1:2], off
	global_store_dwordx2 v[19:20], v[3:4], off
	s_waitcnt vmcnt(2)
	global_store_dwordx2 v[21:22], v[5:6], off
	global_store_dwordx2 v[23:24], v[7:8], off
	;; [unrolled: 3-line block ×4, first 2 shown]
	s_endpgm
	.section	.rodata,"a",@progbits
	.p2align	6, 0x0
	.amdhsa_kernel _Z16warp_load_kernelILj256ELj8ELj64ELN6hipcub17WarpLoadAlgorithmE2EdEvPT3_S3_
		.amdhsa_group_segment_fixed_size 0
		.amdhsa_private_segment_fixed_size 0
		.amdhsa_kernarg_size 16
		.amdhsa_user_sgpr_count 6
		.amdhsa_user_sgpr_private_segment_buffer 1
		.amdhsa_user_sgpr_dispatch_ptr 0
		.amdhsa_user_sgpr_queue_ptr 0
		.amdhsa_user_sgpr_kernarg_segment_ptr 1
		.amdhsa_user_sgpr_dispatch_id 0
		.amdhsa_user_sgpr_flat_scratch_init 0
		.amdhsa_user_sgpr_private_segment_size 0
		.amdhsa_wavefront_size32 1
		.amdhsa_uses_dynamic_stack 0
		.amdhsa_system_sgpr_private_segment_wavefront_offset 0
		.amdhsa_system_sgpr_workgroup_id_x 1
		.amdhsa_system_sgpr_workgroup_id_y 0
		.amdhsa_system_sgpr_workgroup_id_z 0
		.amdhsa_system_sgpr_workgroup_info 0
		.amdhsa_system_vgpr_workitem_id 0
		.amdhsa_next_free_vgpr 33
		.amdhsa_next_free_sgpr 7
		.amdhsa_reserve_vcc 1
		.amdhsa_reserve_flat_scratch 0
		.amdhsa_float_round_mode_32 0
		.amdhsa_float_round_mode_16_64 0
		.amdhsa_float_denorm_mode_32 3
		.amdhsa_float_denorm_mode_16_64 3
		.amdhsa_dx10_clamp 1
		.amdhsa_ieee_mode 1
		.amdhsa_fp16_overflow 0
		.amdhsa_workgroup_processor_mode 1
		.amdhsa_memory_ordered 1
		.amdhsa_forward_progress 1
		.amdhsa_shared_vgpr_count 0
		.amdhsa_exception_fp_ieee_invalid_op 0
		.amdhsa_exception_fp_denorm_src 0
		.amdhsa_exception_fp_ieee_div_zero 0
		.amdhsa_exception_fp_ieee_overflow 0
		.amdhsa_exception_fp_ieee_underflow 0
		.amdhsa_exception_fp_ieee_inexact 0
		.amdhsa_exception_int_div_zero 0
	.end_amdhsa_kernel
	.section	.text._Z16warp_load_kernelILj256ELj8ELj64ELN6hipcub17WarpLoadAlgorithmE2EdEvPT3_S3_,"axG",@progbits,_Z16warp_load_kernelILj256ELj8ELj64ELN6hipcub17WarpLoadAlgorithmE2EdEvPT3_S3_,comdat
.Lfunc_end62:
	.size	_Z16warp_load_kernelILj256ELj8ELj64ELN6hipcub17WarpLoadAlgorithmE2EdEvPT3_S3_, .Lfunc_end62-_Z16warp_load_kernelILj256ELj8ELj64ELN6hipcub17WarpLoadAlgorithmE2EdEvPT3_S3_
                                        ; -- End function
	.set _Z16warp_load_kernelILj256ELj8ELj64ELN6hipcub17WarpLoadAlgorithmE2EdEvPT3_S3_.num_vgpr, 33
	.set _Z16warp_load_kernelILj256ELj8ELj64ELN6hipcub17WarpLoadAlgorithmE2EdEvPT3_S3_.num_agpr, 0
	.set _Z16warp_load_kernelILj256ELj8ELj64ELN6hipcub17WarpLoadAlgorithmE2EdEvPT3_S3_.numbered_sgpr, 7
	.set _Z16warp_load_kernelILj256ELj8ELj64ELN6hipcub17WarpLoadAlgorithmE2EdEvPT3_S3_.num_named_barrier, 0
	.set _Z16warp_load_kernelILj256ELj8ELj64ELN6hipcub17WarpLoadAlgorithmE2EdEvPT3_S3_.private_seg_size, 0
	.set _Z16warp_load_kernelILj256ELj8ELj64ELN6hipcub17WarpLoadAlgorithmE2EdEvPT3_S3_.uses_vcc, 1
	.set _Z16warp_load_kernelILj256ELj8ELj64ELN6hipcub17WarpLoadAlgorithmE2EdEvPT3_S3_.uses_flat_scratch, 0
	.set _Z16warp_load_kernelILj256ELj8ELj64ELN6hipcub17WarpLoadAlgorithmE2EdEvPT3_S3_.has_dyn_sized_stack, 0
	.set _Z16warp_load_kernelILj256ELj8ELj64ELN6hipcub17WarpLoadAlgorithmE2EdEvPT3_S3_.has_recursion, 0
	.set _Z16warp_load_kernelILj256ELj8ELj64ELN6hipcub17WarpLoadAlgorithmE2EdEvPT3_S3_.has_indirect_call, 0
	.section	.AMDGPU.csdata,"",@progbits
; Kernel info:
; codeLenInByte = 484
; TotalNumSgprs: 9
; NumVgprs: 33
; ScratchSize: 0
; MemoryBound: 0
; FloatMode: 240
; IeeeMode: 1
; LDSByteSize: 0 bytes/workgroup (compile time only)
; SGPRBlocks: 0
; VGPRBlocks: 4
; NumSGPRsForWavesPerEU: 9
; NumVGPRsForWavesPerEU: 33
; Occupancy: 16
; WaveLimiterHint : 0
; COMPUTE_PGM_RSRC2:SCRATCH_EN: 0
; COMPUTE_PGM_RSRC2:USER_SGPR: 6
; COMPUTE_PGM_RSRC2:TRAP_HANDLER: 0
; COMPUTE_PGM_RSRC2:TGID_X_EN: 1
; COMPUTE_PGM_RSRC2:TGID_Y_EN: 0
; COMPUTE_PGM_RSRC2:TGID_Z_EN: 0
; COMPUTE_PGM_RSRC2:TIDIG_COMP_CNT: 0
	.section	.text._Z16warp_load_kernelILj256ELj8ELj64ELN6hipcub17WarpLoadAlgorithmE3EdEvPT3_S3_,"axG",@progbits,_Z16warp_load_kernelILj256ELj8ELj64ELN6hipcub17WarpLoadAlgorithmE3EdEvPT3_S3_,comdat
	.protected	_Z16warp_load_kernelILj256ELj8ELj64ELN6hipcub17WarpLoadAlgorithmE3EdEvPT3_S3_ ; -- Begin function _Z16warp_load_kernelILj256ELj8ELj64ELN6hipcub17WarpLoadAlgorithmE3EdEvPT3_S3_
	.globl	_Z16warp_load_kernelILj256ELj8ELj64ELN6hipcub17WarpLoadAlgorithmE3EdEvPT3_S3_
	.p2align	8
	.type	_Z16warp_load_kernelILj256ELj8ELj64ELN6hipcub17WarpLoadAlgorithmE3EdEvPT3_S3_,@function
_Z16warp_load_kernelILj256ELj8ELj64ELN6hipcub17WarpLoadAlgorithmE3EdEvPT3_S3_: ; @_Z16warp_load_kernelILj256ELj8ELj64ELN6hipcub17WarpLoadAlgorithmE3EdEvPT3_S3_
; %bb.0:
	s_load_dwordx4 s[0:3], s[4:5], 0x0
	v_lshrrev_b32_e32 v19, 6, v0
	s_lshl_b32 s4, s6, 11
	v_mov_b32_e32 v2, 0
	v_mbcnt_lo_u32_b32 v21, -1, 0
	v_lshl_or_b32 v1, v19, 9, s4
	v_lshlrev_b32_e32 v19, 12, v19
	v_mov_b32_e32 v20, v2
	v_lshlrev_b32_e32 v23, 3, v21
	v_mov_b32_e32 v22, v2
	v_lshlrev_b64 v[3:4], 3, v[1:2]
	v_lshl_or_b32 v35, v21, 6, v19
	v_mov_b32_e32 v24, v2
	v_mov_b32_e32 v26, v2
	;; [unrolled: 1-line block ×4, first 2 shown]
	s_waitcnt lgkmcnt(0)
	v_add_co_u32 v1, vcc_lo, s0, v3
	v_add_co_ci_u32_e64 v4, null, s1, v4, vcc_lo
	v_add_co_u32 v3, vcc_lo, v1, v23
	v_add_co_ci_u32_e64 v4, null, 0, v4, vcc_lo
	v_or_b32_e32 v1, s4, v0
	v_add_co_u32 v5, vcc_lo, 0x800, v3
	v_add_co_ci_u32_e64 v6, null, 0, v4, vcc_lo
	s_clause 0x7
	global_load_dwordx2 v[7:8], v[3:4], off
	global_load_dwordx2 v[9:10], v[3:4], off offset:512
	global_load_dwordx2 v[11:12], v[3:4], off offset:1024
	;; [unrolled: 1-line block ×3, first 2 shown]
	global_load_dwordx2 v[13:14], v[5:6], off
	global_load_dwordx2 v[15:16], v[5:6], off offset:512
	global_load_dwordx2 v[17:18], v[5:6], off offset:1024
	;; [unrolled: 1-line block ×3, first 2 shown]
	v_or_b32_e32 v0, v19, v23
	v_lshlrev_b64 v[31:32], 3, v[1:2]
	v_or_b32_e32 v19, 0x100, v1
	v_or_b32_e32 v21, 0x200, v1
	;; [unrolled: 1-line block ×7, first 2 shown]
	v_lshlrev_b64 v[19:20], 3, v[19:20]
	v_lshlrev_b64 v[21:22], 3, v[21:22]
	;; [unrolled: 1-line block ×3, first 2 shown]
	v_add_co_u32 v31, vcc_lo, s2, v31
	v_lshlrev_b64 v[33:34], 3, v[1:2]
	v_lshlrev_b64 v[25:26], 3, v[25:26]
	v_add_co_ci_u32_e64 v32, null, s3, v32, vcc_lo
	v_add_co_u32 v19, vcc_lo, s2, v19
	v_lshlrev_b64 v[27:28], 3, v[27:28]
	v_add_co_ci_u32_e64 v20, null, s3, v20, vcc_lo
	v_add_co_u32 v21, vcc_lo, s2, v21
	;; [unrolled: 3-line block ×3, first 2 shown]
	v_add_co_ci_u32_e64 v24, null, s3, v24, vcc_lo
	s_waitcnt vmcnt(6)
	ds_write2st64_b64 v0, v[7:8], v[9:10] offset1:1
	s_waitcnt vmcnt(4)
	ds_write2st64_b64 v0, v[11:12], v[3:4] offset0:2 offset1:3
	s_waitcnt vmcnt(2)
	ds_write2st64_b64 v0, v[13:14], v[15:16] offset0:4 offset1:5
	;; [unrolled: 2-line block ×3, first 2 shown]
	; wave barrier
	ds_read_b128 v[0:3], v35
	ds_read_b128 v[4:7], v35 offset:16
	ds_read_b128 v[8:11], v35 offset:32
	;; [unrolled: 1-line block ×3, first 2 shown]
	v_add_co_u32 v16, vcc_lo, s2, v25
	v_add_co_ci_u32_e64 v17, null, s3, v26, vcc_lo
	v_add_co_u32 v25, vcc_lo, s2, v27
	v_add_co_ci_u32_e64 v26, null, s3, v28, vcc_lo
	;; [unrolled: 2-line block ×4, first 2 shown]
	s_waitcnt lgkmcnt(3)
	global_store_dwordx2 v[31:32], v[0:1], off
	global_store_dwordx2 v[19:20], v[2:3], off
	s_waitcnt lgkmcnt(2)
	global_store_dwordx2 v[21:22], v[4:5], off
	global_store_dwordx2 v[23:24], v[6:7], off
	;; [unrolled: 3-line block ×4, first 2 shown]
	s_endpgm
	.section	.rodata,"a",@progbits
	.p2align	6, 0x0
	.amdhsa_kernel _Z16warp_load_kernelILj256ELj8ELj64ELN6hipcub17WarpLoadAlgorithmE3EdEvPT3_S3_
		.amdhsa_group_segment_fixed_size 16384
		.amdhsa_private_segment_fixed_size 0
		.amdhsa_kernarg_size 16
		.amdhsa_user_sgpr_count 6
		.amdhsa_user_sgpr_private_segment_buffer 1
		.amdhsa_user_sgpr_dispatch_ptr 0
		.amdhsa_user_sgpr_queue_ptr 0
		.amdhsa_user_sgpr_kernarg_segment_ptr 1
		.amdhsa_user_sgpr_dispatch_id 0
		.amdhsa_user_sgpr_flat_scratch_init 0
		.amdhsa_user_sgpr_private_segment_size 0
		.amdhsa_wavefront_size32 1
		.amdhsa_uses_dynamic_stack 0
		.amdhsa_system_sgpr_private_segment_wavefront_offset 0
		.amdhsa_system_sgpr_workgroup_id_x 1
		.amdhsa_system_sgpr_workgroup_id_y 0
		.amdhsa_system_sgpr_workgroup_id_z 0
		.amdhsa_system_sgpr_workgroup_info 0
		.amdhsa_system_vgpr_workitem_id 0
		.amdhsa_next_free_vgpr 36
		.amdhsa_next_free_sgpr 7
		.amdhsa_reserve_vcc 1
		.amdhsa_reserve_flat_scratch 0
		.amdhsa_float_round_mode_32 0
		.amdhsa_float_round_mode_16_64 0
		.amdhsa_float_denorm_mode_32 3
		.amdhsa_float_denorm_mode_16_64 3
		.amdhsa_dx10_clamp 1
		.amdhsa_ieee_mode 1
		.amdhsa_fp16_overflow 0
		.amdhsa_workgroup_processor_mode 1
		.amdhsa_memory_ordered 1
		.amdhsa_forward_progress 1
		.amdhsa_shared_vgpr_count 0
		.amdhsa_exception_fp_ieee_invalid_op 0
		.amdhsa_exception_fp_denorm_src 0
		.amdhsa_exception_fp_ieee_div_zero 0
		.amdhsa_exception_fp_ieee_overflow 0
		.amdhsa_exception_fp_ieee_underflow 0
		.amdhsa_exception_fp_ieee_inexact 0
		.amdhsa_exception_int_div_zero 0
	.end_amdhsa_kernel
	.section	.text._Z16warp_load_kernelILj256ELj8ELj64ELN6hipcub17WarpLoadAlgorithmE3EdEvPT3_S3_,"axG",@progbits,_Z16warp_load_kernelILj256ELj8ELj64ELN6hipcub17WarpLoadAlgorithmE3EdEvPT3_S3_,comdat
.Lfunc_end63:
	.size	_Z16warp_load_kernelILj256ELj8ELj64ELN6hipcub17WarpLoadAlgorithmE3EdEvPT3_S3_, .Lfunc_end63-_Z16warp_load_kernelILj256ELj8ELj64ELN6hipcub17WarpLoadAlgorithmE3EdEvPT3_S3_
                                        ; -- End function
	.set _Z16warp_load_kernelILj256ELj8ELj64ELN6hipcub17WarpLoadAlgorithmE3EdEvPT3_S3_.num_vgpr, 36
	.set _Z16warp_load_kernelILj256ELj8ELj64ELN6hipcub17WarpLoadAlgorithmE3EdEvPT3_S3_.num_agpr, 0
	.set _Z16warp_load_kernelILj256ELj8ELj64ELN6hipcub17WarpLoadAlgorithmE3EdEvPT3_S3_.numbered_sgpr, 7
	.set _Z16warp_load_kernelILj256ELj8ELj64ELN6hipcub17WarpLoadAlgorithmE3EdEvPT3_S3_.num_named_barrier, 0
	.set _Z16warp_load_kernelILj256ELj8ELj64ELN6hipcub17WarpLoadAlgorithmE3EdEvPT3_S3_.private_seg_size, 0
	.set _Z16warp_load_kernelILj256ELj8ELj64ELN6hipcub17WarpLoadAlgorithmE3EdEvPT3_S3_.uses_vcc, 1
	.set _Z16warp_load_kernelILj256ELj8ELj64ELN6hipcub17WarpLoadAlgorithmE3EdEvPT3_S3_.uses_flat_scratch, 0
	.set _Z16warp_load_kernelILj256ELj8ELj64ELN6hipcub17WarpLoadAlgorithmE3EdEvPT3_S3_.has_dyn_sized_stack, 0
	.set _Z16warp_load_kernelILj256ELj8ELj64ELN6hipcub17WarpLoadAlgorithmE3EdEvPT3_S3_.has_recursion, 0
	.set _Z16warp_load_kernelILj256ELj8ELj64ELN6hipcub17WarpLoadAlgorithmE3EdEvPT3_S3_.has_indirect_call, 0
	.section	.AMDGPU.csdata,"",@progbits
; Kernel info:
; codeLenInByte = 628
; TotalNumSgprs: 9
; NumVgprs: 36
; ScratchSize: 0
; MemoryBound: 1
; FloatMode: 240
; IeeeMode: 1
; LDSByteSize: 16384 bytes/workgroup (compile time only)
; SGPRBlocks: 0
; VGPRBlocks: 4
; NumSGPRsForWavesPerEU: 9
; NumVGPRsForWavesPerEU: 36
; Occupancy: 16
; WaveLimiterHint : 1
; COMPUTE_PGM_RSRC2:SCRATCH_EN: 0
; COMPUTE_PGM_RSRC2:USER_SGPR: 6
; COMPUTE_PGM_RSRC2:TRAP_HANDLER: 0
; COMPUTE_PGM_RSRC2:TGID_X_EN: 1
; COMPUTE_PGM_RSRC2:TGID_Y_EN: 0
; COMPUTE_PGM_RSRC2:TGID_Z_EN: 0
; COMPUTE_PGM_RSRC2:TIDIG_COMP_CNT: 0
	.section	.text._Z16warp_load_kernelILj256ELj16ELj64ELN6hipcub17WarpLoadAlgorithmE0EdEvPT3_S3_,"axG",@progbits,_Z16warp_load_kernelILj256ELj16ELj64ELN6hipcub17WarpLoadAlgorithmE0EdEvPT3_S3_,comdat
	.protected	_Z16warp_load_kernelILj256ELj16ELj64ELN6hipcub17WarpLoadAlgorithmE0EdEvPT3_S3_ ; -- Begin function _Z16warp_load_kernelILj256ELj16ELj64ELN6hipcub17WarpLoadAlgorithmE0EdEvPT3_S3_
	.globl	_Z16warp_load_kernelILj256ELj16ELj64ELN6hipcub17WarpLoadAlgorithmE0EdEvPT3_S3_
	.p2align	8
	.type	_Z16warp_load_kernelILj256ELj16ELj64ELN6hipcub17WarpLoadAlgorithmE0EdEvPT3_S3_,@function
_Z16warp_load_kernelILj256ELj16ELj64ELN6hipcub17WarpLoadAlgorithmE0EdEvPT3_S3_: ; @_Z16warp_load_kernelILj256ELj16ELj64ELN6hipcub17WarpLoadAlgorithmE0EdEvPT3_S3_
; %bb.0:
	s_load_dwordx4 s[0:3], s[4:5], 0x0
	v_lshlrev_b32_e32 v1, 4, v0
	s_lshl_b32 s4, s6, 12
	v_mov_b32_e32 v34, 0
	v_mbcnt_lo_u32_b32 v3, -1, 0
	v_and_or_b32 v33, 0xc00, v1, s4
	v_mov_b32_e32 v36, v34
	v_lshlrev_b32_e32 v3, 7, v3
	v_mov_b32_e32 v37, v34
	v_lshlrev_b64 v[1:2], 3, v[33:34]
	v_or_b32_e32 v33, s4, v0
	v_mov_b32_e32 v39, v34
	v_mov_b32_e32 v41, v34
	;; [unrolled: 1-line block ×4, first 2 shown]
	v_or_b32_e32 v35, 0x100, v33
	v_lshlrev_b64 v[48:49], 3, v[33:34]
	v_or_b32_e32 v38, 0x300, v33
	s_waitcnt lgkmcnt(0)
	v_add_co_u32 v1, vcc_lo, s0, v1
	v_add_co_ci_u32_e64 v2, null, s1, v2, vcc_lo
	v_lshlrev_b64 v[35:36], 3, v[35:36]
	v_add_co_u32 v29, vcc_lo, v1, v3
	v_add_co_ci_u32_e64 v30, null, 0, v2, vcc_lo
	v_add_co_u32 v48, vcc_lo, s2, v48
	v_add_co_ci_u32_e64 v49, null, s3, v49, vcc_lo
	s_clause 0x7
	global_load_dwordx4 v[1:4], v[29:30], off
	global_load_dwordx4 v[5:8], v[29:30], off offset:16
	global_load_dwordx4 v[9:12], v[29:30], off offset:32
	;; [unrolled: 1-line block ×7, first 2 shown]
	v_add_co_u32 v35, vcc_lo, s2, v35
	v_add_co_ci_u32_e64 v36, null, s3, v36, vcc_lo
	v_or_b32_e32 v40, 0x400, v33
	v_or_b32_e32 v42, 0x500, v33
	;; [unrolled: 1-line block ×3, first 2 shown]
	v_mov_b32_e32 v47, v34
	v_or_b32_e32 v46, 0x700, v33
	v_mov_b32_e32 v50, v34
	v_mov_b32_e32 v52, v34
	v_or_b32_e32 v51, 0x900, v33
	v_mov_b32_e32 v54, v34
	v_or_b32_e32 v53, 0xa00, v33
	v_mov_b32_e32 v56, v34
	v_or_b32_e32 v55, 0xb00, v33
	v_mov_b32_e32 v58, v34
	v_or_b32_e32 v57, 0xc00, v33
	v_or_b32_e32 v0, 0xd00, v33
	s_waitcnt vmcnt(7)
	global_store_dwordx2 v[35:36], v[3:4], off
	v_or_b32_e32 v36, 0x200, v33
	global_store_dwordx2 v[48:49], v[1:2], off
	v_or_b32_e32 v49, 0x800, v33
	v_mov_b32_e32 v1, v34
	v_mov_b32_e32 v3, v34
	v_lshlrev_b64 v[35:36], 3, v[36:37]
	v_lshlrev_b64 v[37:38], 3, v[38:39]
	;; [unrolled: 1-line block ×6, first 2 shown]
	v_add_co_u32 v35, vcc_lo, s2, v35
	v_add_co_ci_u32_e64 v36, null, s3, v36, vcc_lo
	v_add_co_u32 v37, vcc_lo, s2, v37
	v_add_co_ci_u32_e64 v38, null, s3, v38, vcc_lo
	v_add_co_u32 v39, vcc_lo, s2, v39
	v_lshlrev_b64 v[47:48], 3, v[49:50]
	v_add_co_ci_u32_e64 v40, null, s3, v40, vcc_lo
	v_add_co_u32 v41, vcc_lo, s2, v41
	v_lshlrev_b64 v[49:50], 3, v[51:52]
	;; [unrolled: 3-line block ×4, first 2 shown]
	v_add_co_ci_u32_e64 v46, null, s3, v46, vcc_lo
	v_add_co_u32 v47, vcc_lo, s2, v47
	v_or_b32_e32 v2, 0xe00, v33
	v_lshlrev_b64 v[55:56], 3, v[57:58]
	v_add_co_ci_u32_e64 v48, null, s3, v48, vcc_lo
	v_add_co_u32 v49, vcc_lo, s2, v49
	v_or_b32_e32 v33, 0xf00, v33
	v_lshlrev_b64 v[0:1], 3, v[0:1]
	v_add_co_ci_u32_e64 v50, null, s3, v50, vcc_lo
	v_add_co_u32 v51, vcc_lo, s2, v51
	v_lshlrev_b64 v[2:3], 3, v[2:3]
	v_add_co_ci_u32_e64 v52, null, s3, v52, vcc_lo
	v_add_co_u32 v53, vcc_lo, s2, v53
	;; [unrolled: 3-line block ×3, first 2 shown]
	v_add_co_ci_u32_e64 v56, null, s3, v56, vcc_lo
	v_add_co_u32 v0, vcc_lo, s2, v0
	v_add_co_ci_u32_e64 v1, null, s3, v1, vcc_lo
	v_add_co_u32 v2, vcc_lo, s2, v2
	;; [unrolled: 2-line block ×3, first 2 shown]
	v_add_co_ci_u32_e64 v34, null, s3, v34, vcc_lo
	s_waitcnt vmcnt(6)
	global_store_dwordx2 v[35:36], v[5:6], off
	global_store_dwordx2 v[37:38], v[7:8], off
	s_waitcnt vmcnt(5)
	global_store_dwordx2 v[39:40], v[9:10], off
	global_store_dwordx2 v[41:42], v[11:12], off
	;; [unrolled: 3-line block ×7, first 2 shown]
	s_endpgm
	.section	.rodata,"a",@progbits
	.p2align	6, 0x0
	.amdhsa_kernel _Z16warp_load_kernelILj256ELj16ELj64ELN6hipcub17WarpLoadAlgorithmE0EdEvPT3_S3_
		.amdhsa_group_segment_fixed_size 0
		.amdhsa_private_segment_fixed_size 0
		.amdhsa_kernarg_size 16
		.amdhsa_user_sgpr_count 6
		.amdhsa_user_sgpr_private_segment_buffer 1
		.amdhsa_user_sgpr_dispatch_ptr 0
		.amdhsa_user_sgpr_queue_ptr 0
		.amdhsa_user_sgpr_kernarg_segment_ptr 1
		.amdhsa_user_sgpr_dispatch_id 0
		.amdhsa_user_sgpr_flat_scratch_init 0
		.amdhsa_user_sgpr_private_segment_size 0
		.amdhsa_wavefront_size32 1
		.amdhsa_uses_dynamic_stack 0
		.amdhsa_system_sgpr_private_segment_wavefront_offset 0
		.amdhsa_system_sgpr_workgroup_id_x 1
		.amdhsa_system_sgpr_workgroup_id_y 0
		.amdhsa_system_sgpr_workgroup_id_z 0
		.amdhsa_system_sgpr_workgroup_info 0
		.amdhsa_system_vgpr_workitem_id 0
		.amdhsa_next_free_vgpr 59
		.amdhsa_next_free_sgpr 7
		.amdhsa_reserve_vcc 1
		.amdhsa_reserve_flat_scratch 0
		.amdhsa_float_round_mode_32 0
		.amdhsa_float_round_mode_16_64 0
		.amdhsa_float_denorm_mode_32 3
		.amdhsa_float_denorm_mode_16_64 3
		.amdhsa_dx10_clamp 1
		.amdhsa_ieee_mode 1
		.amdhsa_fp16_overflow 0
		.amdhsa_workgroup_processor_mode 1
		.amdhsa_memory_ordered 1
		.amdhsa_forward_progress 1
		.amdhsa_shared_vgpr_count 0
		.amdhsa_exception_fp_ieee_invalid_op 0
		.amdhsa_exception_fp_denorm_src 0
		.amdhsa_exception_fp_ieee_div_zero 0
		.amdhsa_exception_fp_ieee_overflow 0
		.amdhsa_exception_fp_ieee_underflow 0
		.amdhsa_exception_fp_ieee_inexact 0
		.amdhsa_exception_int_div_zero 0
	.end_amdhsa_kernel
	.section	.text._Z16warp_load_kernelILj256ELj16ELj64ELN6hipcub17WarpLoadAlgorithmE0EdEvPT3_S3_,"axG",@progbits,_Z16warp_load_kernelILj256ELj16ELj64ELN6hipcub17WarpLoadAlgorithmE0EdEvPT3_S3_,comdat
.Lfunc_end64:
	.size	_Z16warp_load_kernelILj256ELj16ELj64ELN6hipcub17WarpLoadAlgorithmE0EdEvPT3_S3_, .Lfunc_end64-_Z16warp_load_kernelILj256ELj16ELj64ELN6hipcub17WarpLoadAlgorithmE0EdEvPT3_S3_
                                        ; -- End function
	.set _Z16warp_load_kernelILj256ELj16ELj64ELN6hipcub17WarpLoadAlgorithmE0EdEvPT3_S3_.num_vgpr, 59
	.set _Z16warp_load_kernelILj256ELj16ELj64ELN6hipcub17WarpLoadAlgorithmE0EdEvPT3_S3_.num_agpr, 0
	.set _Z16warp_load_kernelILj256ELj16ELj64ELN6hipcub17WarpLoadAlgorithmE0EdEvPT3_S3_.numbered_sgpr, 7
	.set _Z16warp_load_kernelILj256ELj16ELj64ELN6hipcub17WarpLoadAlgorithmE0EdEvPT3_S3_.num_named_barrier, 0
	.set _Z16warp_load_kernelILj256ELj16ELj64ELN6hipcub17WarpLoadAlgorithmE0EdEvPT3_S3_.private_seg_size, 0
	.set _Z16warp_load_kernelILj256ELj16ELj64ELN6hipcub17WarpLoadAlgorithmE0EdEvPT3_S3_.uses_vcc, 1
	.set _Z16warp_load_kernelILj256ELj16ELj64ELN6hipcub17WarpLoadAlgorithmE0EdEvPT3_S3_.uses_flat_scratch, 0
	.set _Z16warp_load_kernelILj256ELj16ELj64ELN6hipcub17WarpLoadAlgorithmE0EdEvPT3_S3_.has_dyn_sized_stack, 0
	.set _Z16warp_load_kernelILj256ELj16ELj64ELN6hipcub17WarpLoadAlgorithmE0EdEvPT3_S3_.has_recursion, 0
	.set _Z16warp_load_kernelILj256ELj16ELj64ELN6hipcub17WarpLoadAlgorithmE0EdEvPT3_S3_.has_indirect_call, 0
	.section	.AMDGPU.csdata,"",@progbits
; Kernel info:
; codeLenInByte = 884
; TotalNumSgprs: 9
; NumVgprs: 59
; ScratchSize: 0
; MemoryBound: 1
; FloatMode: 240
; IeeeMode: 1
; LDSByteSize: 0 bytes/workgroup (compile time only)
; SGPRBlocks: 0
; VGPRBlocks: 7
; NumSGPRsForWavesPerEU: 9
; NumVGPRsForWavesPerEU: 59
; Occupancy: 16
; WaveLimiterHint : 1
; COMPUTE_PGM_RSRC2:SCRATCH_EN: 0
; COMPUTE_PGM_RSRC2:USER_SGPR: 6
; COMPUTE_PGM_RSRC2:TRAP_HANDLER: 0
; COMPUTE_PGM_RSRC2:TGID_X_EN: 1
; COMPUTE_PGM_RSRC2:TGID_Y_EN: 0
; COMPUTE_PGM_RSRC2:TGID_Z_EN: 0
; COMPUTE_PGM_RSRC2:TIDIG_COMP_CNT: 0
	.section	.text._Z16warp_load_kernelILj256ELj16ELj64ELN6hipcub17WarpLoadAlgorithmE1EdEvPT3_S3_,"axG",@progbits,_Z16warp_load_kernelILj256ELj16ELj64ELN6hipcub17WarpLoadAlgorithmE1EdEvPT3_S3_,comdat
	.protected	_Z16warp_load_kernelILj256ELj16ELj64ELN6hipcub17WarpLoadAlgorithmE1EdEvPT3_S3_ ; -- Begin function _Z16warp_load_kernelILj256ELj16ELj64ELN6hipcub17WarpLoadAlgorithmE1EdEvPT3_S3_
	.globl	_Z16warp_load_kernelILj256ELj16ELj64ELN6hipcub17WarpLoadAlgorithmE1EdEvPT3_S3_
	.p2align	8
	.type	_Z16warp_load_kernelILj256ELj16ELj64ELN6hipcub17WarpLoadAlgorithmE1EdEvPT3_S3_,@function
_Z16warp_load_kernelILj256ELj16ELj64ELN6hipcub17WarpLoadAlgorithmE1EdEvPT3_S3_: ; @_Z16warp_load_kernelILj256ELj16ELj64ELN6hipcub17WarpLoadAlgorithmE1EdEvPT3_S3_
; %bb.0:
	s_load_dwordx4 s[0:3], s[4:5], 0x0
	v_lshlrev_b32_e32 v1, 4, v0
	s_lshl_b32 s4, s6, 12
	v_mov_b32_e32 v2, 0
	v_mbcnt_lo_u32_b32 v5, -1, 0
	v_and_or_b32 v1, 0xc00, v1, s4
	v_mov_b32_e32 v36, v2
	v_mov_b32_e32 v38, v2
	;; [unrolled: 1-line block ×3, first 2 shown]
	v_lshlrev_b64 v[3:4], 3, v[1:2]
	v_lshlrev_b32_e32 v1, 3, v5
	v_mov_b32_e32 v42, v2
	v_mov_b32_e32 v45, v2
	;; [unrolled: 1-line block ×7, first 2 shown]
	s_waitcnt lgkmcnt(0)
	v_add_co_u32 v3, vcc_lo, s0, v3
	v_add_co_ci_u32_e64 v4, null, s1, v4, vcc_lo
	v_mov_b32_e32 v57, v2
	v_add_co_u32 v3, vcc_lo, v3, v1
	v_add_co_ci_u32_e64 v4, null, 0, v4, vcc_lo
	v_or_b32_e32 v1, s4, v0
	v_add_co_u32 v13, vcc_lo, 0x800, v3
	s_clause 0x3
	global_load_dwordx2 v[5:6], v[3:4], off
	global_load_dwordx2 v[7:8], v[3:4], off offset:512
	global_load_dwordx2 v[9:10], v[3:4], off offset:1024
	;; [unrolled: 1-line block ×3, first 2 shown]
	v_add_co_ci_u32_e64 v14, null, 0, v4, vcc_lo
	v_add_co_u32 v15, vcc_lo, v3, 0x1000
	v_add_co_ci_u32_e64 v16, null, 0, v4, vcc_lo
	v_add_co_u32 v17, vcc_lo, 0x1000, v3
	;; [unrolled: 2-line block ×3, first 2 shown]
	v_add_co_ci_u32_e64 v4, null, 0, v4, vcc_lo
	s_clause 0xb
	global_load_dwordx2 v[19:20], v[15:16], off offset:-2048
	global_load_dwordx2 v[21:22], v[13:14], off offset:512
	global_load_dwordx2 v[23:24], v[13:14], off offset:1024
	global_load_dwordx2 v[13:14], v[13:14], off offset:1536
	global_load_dwordx2 v[15:16], v[15:16], off
	global_load_dwordx2 v[25:26], v[17:18], off offset:512
	global_load_dwordx2 v[27:28], v[17:18], off offset:1024
	;; [unrolled: 1-line block ×3, first 2 shown]
	global_load_dwordx2 v[29:30], v[3:4], off
	global_load_dwordx2 v[31:32], v[3:4], off offset:512
	global_load_dwordx2 v[33:34], v[3:4], off offset:1024
	;; [unrolled: 1-line block ×3, first 2 shown]
	v_lshlrev_b64 v[43:44], 3, v[1:2]
	v_or_b32_e32 v35, 0x100, v1
	v_or_b32_e32 v37, 0x200, v1
	v_or_b32_e32 v39, 0x300, v1
	v_or_b32_e32 v41, 0x400, v1
	v_or_b32_e32 v46, 0x600, v1
	v_add_co_u32 v43, vcc_lo, s2, v43
	v_add_co_ci_u32_e64 v44, null, s3, v44, vcc_lo
	v_lshlrev_b64 v[35:36], 3, v[35:36]
	v_lshlrev_b64 v[37:38], 3, v[37:38]
	v_lshlrev_b64 v[39:40], 3, v[39:40]
	v_lshlrev_b64 v[41:42], 3, v[41:42]
	v_or_b32_e32 v48, 0x700, v1
	v_or_b32_e32 v50, 0x800, v1
	v_add_co_u32 v35, vcc_lo, s2, v35
	v_add_co_ci_u32_e64 v36, null, s3, v36, vcc_lo
	v_add_co_u32 v37, vcc_lo, s2, v37
	v_add_co_ci_u32_e64 v38, null, s3, v38, vcc_lo
	v_add_co_u32 v39, vcc_lo, s2, v39
	v_or_b32_e32 v52, 0x900, v1
	v_add_co_ci_u32_e64 v40, null, s3, v40, vcc_lo
	v_add_co_u32 v41, vcc_lo, s2, v41
	v_or_b32_e32 v54, 0xa00, v1
	v_add_co_ci_u32_e64 v42, null, s3, v42, vcc_lo
	v_or_b32_e32 v56, 0xb00, v1
	v_mov_b32_e32 v59, v2
	v_or_b32_e32 v58, 0xc00, v1
	v_mov_b32_e32 v60, v2
	s_waitcnt vmcnt(15)
	global_store_dwordx2 v[43:44], v[5:6], off
	v_or_b32_e32 v44, 0x500, v1
	v_mov_b32_e32 v6, v2
	v_or_b32_e32 v5, 0xd00, v1
	v_lshlrev_b64 v[43:44], 3, v[44:45]
	v_lshlrev_b64 v[45:46], 3, v[46:47]
	;; [unrolled: 1-line block ×6, first 2 shown]
	v_add_co_u32 v43, vcc_lo, s2, v43
	v_add_co_ci_u32_e64 v44, null, s3, v44, vcc_lo
	v_add_co_u32 v45, vcc_lo, s2, v45
	v_add_co_ci_u32_e64 v46, null, s3, v46, vcc_lo
	v_add_co_u32 v47, vcc_lo, s2, v47
	v_lshlrev_b64 v[55:56], 3, v[56:57]
	v_add_co_ci_u32_e64 v48, null, s3, v48, vcc_lo
	v_add_co_u32 v49, vcc_lo, s2, v49
	v_lshlrev_b64 v[57:58], 3, v[58:59]
	v_or_b32_e32 v59, 0xe00, v1
	v_add_co_ci_u32_e64 v50, null, s3, v50, vcc_lo
	v_add_co_u32 v51, vcc_lo, s2, v51
	v_or_b32_e32 v1, 0xf00, v1
	v_lshlrev_b64 v[5:6], 3, v[5:6]
	v_add_co_ci_u32_e64 v52, null, s3, v52, vcc_lo
	v_add_co_u32 v53, vcc_lo, s2, v53
	v_add_co_ci_u32_e64 v54, null, s3, v54, vcc_lo
	v_add_co_u32 v55, vcc_lo, s2, v55
	v_lshlrev_b64 v[59:60], 3, v[59:60]
	v_add_co_ci_u32_e64 v56, null, s3, v56, vcc_lo
	v_add_co_u32 v57, vcc_lo, s2, v57
	v_lshlrev_b64 v[0:1], 3, v[1:2]
	v_add_co_ci_u32_e64 v58, null, s3, v58, vcc_lo
	v_add_co_u32 v5, vcc_lo, s2, v5
	v_add_co_ci_u32_e64 v6, null, s3, v6, vcc_lo
	v_add_co_u32 v59, vcc_lo, s2, v59
	;; [unrolled: 2-line block ×3, first 2 shown]
	v_add_co_ci_u32_e64 v1, null, s3, v1, vcc_lo
	s_waitcnt vmcnt(14)
	global_store_dwordx2 v[35:36], v[7:8], off
	s_waitcnt vmcnt(13)
	global_store_dwordx2 v[37:38], v[9:10], off
	s_waitcnt vmcnt(12)
	global_store_dwordx2 v[39:40], v[11:12], off
	s_waitcnt vmcnt(11)
	global_store_dwordx2 v[41:42], v[19:20], off
	s_waitcnt vmcnt(10)
	global_store_dwordx2 v[43:44], v[21:22], off
	s_waitcnt vmcnt(9)
	global_store_dwordx2 v[45:46], v[23:24], off
	s_waitcnt vmcnt(8)
	global_store_dwordx2 v[47:48], v[13:14], off
	s_waitcnt vmcnt(7)
	global_store_dwordx2 v[49:50], v[15:16], off
	s_waitcnt vmcnt(6)
	global_store_dwordx2 v[51:52], v[25:26], off
	s_waitcnt vmcnt(5)
	global_store_dwordx2 v[53:54], v[27:28], off
	s_waitcnt vmcnt(4)
	global_store_dwordx2 v[55:56], v[17:18], off
	s_waitcnt vmcnt(3)
	global_store_dwordx2 v[57:58], v[29:30], off
	s_waitcnt vmcnt(2)
	global_store_dwordx2 v[5:6], v[31:32], off
	s_waitcnt vmcnt(1)
	global_store_dwordx2 v[59:60], v[33:34], off
	s_waitcnt vmcnt(0)
	global_store_dwordx2 v[0:1], v[3:4], off
	s_endpgm
	.section	.rodata,"a",@progbits
	.p2align	6, 0x0
	.amdhsa_kernel _Z16warp_load_kernelILj256ELj16ELj64ELN6hipcub17WarpLoadAlgorithmE1EdEvPT3_S3_
		.amdhsa_group_segment_fixed_size 0
		.amdhsa_private_segment_fixed_size 0
		.amdhsa_kernarg_size 16
		.amdhsa_user_sgpr_count 6
		.amdhsa_user_sgpr_private_segment_buffer 1
		.amdhsa_user_sgpr_dispatch_ptr 0
		.amdhsa_user_sgpr_queue_ptr 0
		.amdhsa_user_sgpr_kernarg_segment_ptr 1
		.amdhsa_user_sgpr_dispatch_id 0
		.amdhsa_user_sgpr_flat_scratch_init 0
		.amdhsa_user_sgpr_private_segment_size 0
		.amdhsa_wavefront_size32 1
		.amdhsa_uses_dynamic_stack 0
		.amdhsa_system_sgpr_private_segment_wavefront_offset 0
		.amdhsa_system_sgpr_workgroup_id_x 1
		.amdhsa_system_sgpr_workgroup_id_y 0
		.amdhsa_system_sgpr_workgroup_id_z 0
		.amdhsa_system_sgpr_workgroup_info 0
		.amdhsa_system_vgpr_workitem_id 0
		.amdhsa_next_free_vgpr 61
		.amdhsa_next_free_sgpr 7
		.amdhsa_reserve_vcc 1
		.amdhsa_reserve_flat_scratch 0
		.amdhsa_float_round_mode_32 0
		.amdhsa_float_round_mode_16_64 0
		.amdhsa_float_denorm_mode_32 3
		.amdhsa_float_denorm_mode_16_64 3
		.amdhsa_dx10_clamp 1
		.amdhsa_ieee_mode 1
		.amdhsa_fp16_overflow 0
		.amdhsa_workgroup_processor_mode 1
		.amdhsa_memory_ordered 1
		.amdhsa_forward_progress 1
		.amdhsa_shared_vgpr_count 0
		.amdhsa_exception_fp_ieee_invalid_op 0
		.amdhsa_exception_fp_denorm_src 0
		.amdhsa_exception_fp_ieee_div_zero 0
		.amdhsa_exception_fp_ieee_overflow 0
		.amdhsa_exception_fp_ieee_underflow 0
		.amdhsa_exception_fp_ieee_inexact 0
		.amdhsa_exception_int_div_zero 0
	.end_amdhsa_kernel
	.section	.text._Z16warp_load_kernelILj256ELj16ELj64ELN6hipcub17WarpLoadAlgorithmE1EdEvPT3_S3_,"axG",@progbits,_Z16warp_load_kernelILj256ELj16ELj64ELN6hipcub17WarpLoadAlgorithmE1EdEvPT3_S3_,comdat
.Lfunc_end65:
	.size	_Z16warp_load_kernelILj256ELj16ELj64ELN6hipcub17WarpLoadAlgorithmE1EdEvPT3_S3_, .Lfunc_end65-_Z16warp_load_kernelILj256ELj16ELj64ELN6hipcub17WarpLoadAlgorithmE1EdEvPT3_S3_
                                        ; -- End function
	.set _Z16warp_load_kernelILj256ELj16ELj64ELN6hipcub17WarpLoadAlgorithmE1EdEvPT3_S3_.num_vgpr, 61
	.set _Z16warp_load_kernelILj256ELj16ELj64ELN6hipcub17WarpLoadAlgorithmE1EdEvPT3_S3_.num_agpr, 0
	.set _Z16warp_load_kernelILj256ELj16ELj64ELN6hipcub17WarpLoadAlgorithmE1EdEvPT3_S3_.numbered_sgpr, 7
	.set _Z16warp_load_kernelILj256ELj16ELj64ELN6hipcub17WarpLoadAlgorithmE1EdEvPT3_S3_.num_named_barrier, 0
	.set _Z16warp_load_kernelILj256ELj16ELj64ELN6hipcub17WarpLoadAlgorithmE1EdEvPT3_S3_.private_seg_size, 0
	.set _Z16warp_load_kernelILj256ELj16ELj64ELN6hipcub17WarpLoadAlgorithmE1EdEvPT3_S3_.uses_vcc, 1
	.set _Z16warp_load_kernelILj256ELj16ELj64ELN6hipcub17WarpLoadAlgorithmE1EdEvPT3_S3_.uses_flat_scratch, 0
	.set _Z16warp_load_kernelILj256ELj16ELj64ELN6hipcub17WarpLoadAlgorithmE1EdEvPT3_S3_.has_dyn_sized_stack, 0
	.set _Z16warp_load_kernelILj256ELj16ELj64ELN6hipcub17WarpLoadAlgorithmE1EdEvPT3_S3_.has_recursion, 0
	.set _Z16warp_load_kernelILj256ELj16ELj64ELN6hipcub17WarpLoadAlgorithmE1EdEvPT3_S3_.has_indirect_call, 0
	.section	.AMDGPU.csdata,"",@progbits
; Kernel info:
; codeLenInByte = 1064
; TotalNumSgprs: 9
; NumVgprs: 61
; ScratchSize: 0
; MemoryBound: 1
; FloatMode: 240
; IeeeMode: 1
; LDSByteSize: 0 bytes/workgroup (compile time only)
; SGPRBlocks: 0
; VGPRBlocks: 7
; NumSGPRsForWavesPerEU: 9
; NumVGPRsForWavesPerEU: 61
; Occupancy: 16
; WaveLimiterHint : 1
; COMPUTE_PGM_RSRC2:SCRATCH_EN: 0
; COMPUTE_PGM_RSRC2:USER_SGPR: 6
; COMPUTE_PGM_RSRC2:TRAP_HANDLER: 0
; COMPUTE_PGM_RSRC2:TGID_X_EN: 1
; COMPUTE_PGM_RSRC2:TGID_Y_EN: 0
; COMPUTE_PGM_RSRC2:TGID_Z_EN: 0
; COMPUTE_PGM_RSRC2:TIDIG_COMP_CNT: 0
	.section	.text._Z16warp_load_kernelILj256ELj16ELj64ELN6hipcub17WarpLoadAlgorithmE2EdEvPT3_S3_,"axG",@progbits,_Z16warp_load_kernelILj256ELj16ELj64ELN6hipcub17WarpLoadAlgorithmE2EdEvPT3_S3_,comdat
	.protected	_Z16warp_load_kernelILj256ELj16ELj64ELN6hipcub17WarpLoadAlgorithmE2EdEvPT3_S3_ ; -- Begin function _Z16warp_load_kernelILj256ELj16ELj64ELN6hipcub17WarpLoadAlgorithmE2EdEvPT3_S3_
	.globl	_Z16warp_load_kernelILj256ELj16ELj64ELN6hipcub17WarpLoadAlgorithmE2EdEvPT3_S3_
	.p2align	8
	.type	_Z16warp_load_kernelILj256ELj16ELj64ELN6hipcub17WarpLoadAlgorithmE2EdEvPT3_S3_,@function
_Z16warp_load_kernelILj256ELj16ELj64ELN6hipcub17WarpLoadAlgorithmE2EdEvPT3_S3_: ; @_Z16warp_load_kernelILj256ELj16ELj64ELN6hipcub17WarpLoadAlgorithmE2EdEvPT3_S3_
; %bb.0:
	s_load_dwordx4 s[0:3], s[4:5], 0x0
	v_lshlrev_b32_e32 v1, 4, v0
	s_lshl_b32 s4, s6, 12
	v_mov_b32_e32 v34, 0
	v_mbcnt_lo_u32_b32 v3, -1, 0
	v_and_or_b32 v33, 0xc00, v1, s4
	v_mov_b32_e32 v36, v34
	v_lshlrev_b32_e32 v3, 7, v3
	v_mov_b32_e32 v37, v34
	v_lshlrev_b64 v[1:2], 3, v[33:34]
	v_or_b32_e32 v33, s4, v0
	v_mov_b32_e32 v39, v34
	v_mov_b32_e32 v41, v34
	;; [unrolled: 1-line block ×4, first 2 shown]
	v_or_b32_e32 v35, 0x100, v33
	v_lshlrev_b64 v[48:49], 3, v[33:34]
	v_or_b32_e32 v38, 0x300, v33
	s_waitcnt lgkmcnt(0)
	v_add_co_u32 v1, vcc_lo, s0, v1
	v_add_co_ci_u32_e64 v2, null, s1, v2, vcc_lo
	v_lshlrev_b64 v[35:36], 3, v[35:36]
	v_add_co_u32 v29, vcc_lo, v1, v3
	v_add_co_ci_u32_e64 v30, null, 0, v2, vcc_lo
	v_add_co_u32 v48, vcc_lo, s2, v48
	v_add_co_ci_u32_e64 v49, null, s3, v49, vcc_lo
	s_clause 0x7
	global_load_dwordx4 v[1:4], v[29:30], off
	global_load_dwordx4 v[5:8], v[29:30], off offset:16
	global_load_dwordx4 v[9:12], v[29:30], off offset:32
	;; [unrolled: 1-line block ×7, first 2 shown]
	v_add_co_u32 v35, vcc_lo, s2, v35
	v_add_co_ci_u32_e64 v36, null, s3, v36, vcc_lo
	v_or_b32_e32 v40, 0x400, v33
	v_or_b32_e32 v42, 0x500, v33
	;; [unrolled: 1-line block ×3, first 2 shown]
	v_mov_b32_e32 v47, v34
	v_or_b32_e32 v46, 0x700, v33
	v_mov_b32_e32 v50, v34
	v_mov_b32_e32 v52, v34
	v_or_b32_e32 v51, 0x900, v33
	v_mov_b32_e32 v54, v34
	v_or_b32_e32 v53, 0xa00, v33
	;; [unrolled: 2-line block ×4, first 2 shown]
	v_or_b32_e32 v0, 0xd00, v33
	s_waitcnt vmcnt(7)
	global_store_dwordx2 v[35:36], v[3:4], off
	v_or_b32_e32 v36, 0x200, v33
	global_store_dwordx2 v[48:49], v[1:2], off
	v_or_b32_e32 v49, 0x800, v33
	v_mov_b32_e32 v1, v34
	v_mov_b32_e32 v3, v34
	v_lshlrev_b64 v[35:36], 3, v[36:37]
	v_lshlrev_b64 v[37:38], 3, v[38:39]
	;; [unrolled: 1-line block ×6, first 2 shown]
	v_add_co_u32 v35, vcc_lo, s2, v35
	v_add_co_ci_u32_e64 v36, null, s3, v36, vcc_lo
	v_add_co_u32 v37, vcc_lo, s2, v37
	v_add_co_ci_u32_e64 v38, null, s3, v38, vcc_lo
	v_add_co_u32 v39, vcc_lo, s2, v39
	v_lshlrev_b64 v[47:48], 3, v[49:50]
	v_add_co_ci_u32_e64 v40, null, s3, v40, vcc_lo
	v_add_co_u32 v41, vcc_lo, s2, v41
	v_lshlrev_b64 v[49:50], 3, v[51:52]
	;; [unrolled: 3-line block ×4, first 2 shown]
	v_add_co_ci_u32_e64 v46, null, s3, v46, vcc_lo
	v_add_co_u32 v47, vcc_lo, s2, v47
	v_or_b32_e32 v2, 0xe00, v33
	v_lshlrev_b64 v[55:56], 3, v[57:58]
	v_add_co_ci_u32_e64 v48, null, s3, v48, vcc_lo
	v_add_co_u32 v49, vcc_lo, s2, v49
	v_or_b32_e32 v33, 0xf00, v33
	v_lshlrev_b64 v[0:1], 3, v[0:1]
	v_add_co_ci_u32_e64 v50, null, s3, v50, vcc_lo
	v_add_co_u32 v51, vcc_lo, s2, v51
	v_lshlrev_b64 v[2:3], 3, v[2:3]
	v_add_co_ci_u32_e64 v52, null, s3, v52, vcc_lo
	v_add_co_u32 v53, vcc_lo, s2, v53
	v_lshlrev_b64 v[33:34], 3, v[33:34]
	v_add_co_ci_u32_e64 v54, null, s3, v54, vcc_lo
	v_add_co_u32 v55, vcc_lo, s2, v55
	v_add_co_ci_u32_e64 v56, null, s3, v56, vcc_lo
	v_add_co_u32 v0, vcc_lo, s2, v0
	v_add_co_ci_u32_e64 v1, null, s3, v1, vcc_lo
	v_add_co_u32 v2, vcc_lo, s2, v2
	;; [unrolled: 2-line block ×3, first 2 shown]
	v_add_co_ci_u32_e64 v34, null, s3, v34, vcc_lo
	s_waitcnt vmcnt(6)
	global_store_dwordx2 v[35:36], v[5:6], off
	global_store_dwordx2 v[37:38], v[7:8], off
	s_waitcnt vmcnt(5)
	global_store_dwordx2 v[39:40], v[9:10], off
	global_store_dwordx2 v[41:42], v[11:12], off
	;; [unrolled: 3-line block ×7, first 2 shown]
	s_endpgm
	.section	.rodata,"a",@progbits
	.p2align	6, 0x0
	.amdhsa_kernel _Z16warp_load_kernelILj256ELj16ELj64ELN6hipcub17WarpLoadAlgorithmE2EdEvPT3_S3_
		.amdhsa_group_segment_fixed_size 0
		.amdhsa_private_segment_fixed_size 0
		.amdhsa_kernarg_size 16
		.amdhsa_user_sgpr_count 6
		.amdhsa_user_sgpr_private_segment_buffer 1
		.amdhsa_user_sgpr_dispatch_ptr 0
		.amdhsa_user_sgpr_queue_ptr 0
		.amdhsa_user_sgpr_kernarg_segment_ptr 1
		.amdhsa_user_sgpr_dispatch_id 0
		.amdhsa_user_sgpr_flat_scratch_init 0
		.amdhsa_user_sgpr_private_segment_size 0
		.amdhsa_wavefront_size32 1
		.amdhsa_uses_dynamic_stack 0
		.amdhsa_system_sgpr_private_segment_wavefront_offset 0
		.amdhsa_system_sgpr_workgroup_id_x 1
		.amdhsa_system_sgpr_workgroup_id_y 0
		.amdhsa_system_sgpr_workgroup_id_z 0
		.amdhsa_system_sgpr_workgroup_info 0
		.amdhsa_system_vgpr_workitem_id 0
		.amdhsa_next_free_vgpr 59
		.amdhsa_next_free_sgpr 7
		.amdhsa_reserve_vcc 1
		.amdhsa_reserve_flat_scratch 0
		.amdhsa_float_round_mode_32 0
		.amdhsa_float_round_mode_16_64 0
		.amdhsa_float_denorm_mode_32 3
		.amdhsa_float_denorm_mode_16_64 3
		.amdhsa_dx10_clamp 1
		.amdhsa_ieee_mode 1
		.amdhsa_fp16_overflow 0
		.amdhsa_workgroup_processor_mode 1
		.amdhsa_memory_ordered 1
		.amdhsa_forward_progress 1
		.amdhsa_shared_vgpr_count 0
		.amdhsa_exception_fp_ieee_invalid_op 0
		.amdhsa_exception_fp_denorm_src 0
		.amdhsa_exception_fp_ieee_div_zero 0
		.amdhsa_exception_fp_ieee_overflow 0
		.amdhsa_exception_fp_ieee_underflow 0
		.amdhsa_exception_fp_ieee_inexact 0
		.amdhsa_exception_int_div_zero 0
	.end_amdhsa_kernel
	.section	.text._Z16warp_load_kernelILj256ELj16ELj64ELN6hipcub17WarpLoadAlgorithmE2EdEvPT3_S3_,"axG",@progbits,_Z16warp_load_kernelILj256ELj16ELj64ELN6hipcub17WarpLoadAlgorithmE2EdEvPT3_S3_,comdat
.Lfunc_end66:
	.size	_Z16warp_load_kernelILj256ELj16ELj64ELN6hipcub17WarpLoadAlgorithmE2EdEvPT3_S3_, .Lfunc_end66-_Z16warp_load_kernelILj256ELj16ELj64ELN6hipcub17WarpLoadAlgorithmE2EdEvPT3_S3_
                                        ; -- End function
	.set _Z16warp_load_kernelILj256ELj16ELj64ELN6hipcub17WarpLoadAlgorithmE2EdEvPT3_S3_.num_vgpr, 59
	.set _Z16warp_load_kernelILj256ELj16ELj64ELN6hipcub17WarpLoadAlgorithmE2EdEvPT3_S3_.num_agpr, 0
	.set _Z16warp_load_kernelILj256ELj16ELj64ELN6hipcub17WarpLoadAlgorithmE2EdEvPT3_S3_.numbered_sgpr, 7
	.set _Z16warp_load_kernelILj256ELj16ELj64ELN6hipcub17WarpLoadAlgorithmE2EdEvPT3_S3_.num_named_barrier, 0
	.set _Z16warp_load_kernelILj256ELj16ELj64ELN6hipcub17WarpLoadAlgorithmE2EdEvPT3_S3_.private_seg_size, 0
	.set _Z16warp_load_kernelILj256ELj16ELj64ELN6hipcub17WarpLoadAlgorithmE2EdEvPT3_S3_.uses_vcc, 1
	.set _Z16warp_load_kernelILj256ELj16ELj64ELN6hipcub17WarpLoadAlgorithmE2EdEvPT3_S3_.uses_flat_scratch, 0
	.set _Z16warp_load_kernelILj256ELj16ELj64ELN6hipcub17WarpLoadAlgorithmE2EdEvPT3_S3_.has_dyn_sized_stack, 0
	.set _Z16warp_load_kernelILj256ELj16ELj64ELN6hipcub17WarpLoadAlgorithmE2EdEvPT3_S3_.has_recursion, 0
	.set _Z16warp_load_kernelILj256ELj16ELj64ELN6hipcub17WarpLoadAlgorithmE2EdEvPT3_S3_.has_indirect_call, 0
	.section	.AMDGPU.csdata,"",@progbits
; Kernel info:
; codeLenInByte = 884
; TotalNumSgprs: 9
; NumVgprs: 59
; ScratchSize: 0
; MemoryBound: 1
; FloatMode: 240
; IeeeMode: 1
; LDSByteSize: 0 bytes/workgroup (compile time only)
; SGPRBlocks: 0
; VGPRBlocks: 7
; NumSGPRsForWavesPerEU: 9
; NumVGPRsForWavesPerEU: 59
; Occupancy: 16
; WaveLimiterHint : 1
; COMPUTE_PGM_RSRC2:SCRATCH_EN: 0
; COMPUTE_PGM_RSRC2:USER_SGPR: 6
; COMPUTE_PGM_RSRC2:TRAP_HANDLER: 0
; COMPUTE_PGM_RSRC2:TGID_X_EN: 1
; COMPUTE_PGM_RSRC2:TGID_Y_EN: 0
; COMPUTE_PGM_RSRC2:TGID_Z_EN: 0
; COMPUTE_PGM_RSRC2:TIDIG_COMP_CNT: 0
	.section	.text._Z16warp_load_kernelILj256ELj32ELj64ELN6hipcub17WarpLoadAlgorithmE0EdEvPT3_S3_,"axG",@progbits,_Z16warp_load_kernelILj256ELj32ELj64ELN6hipcub17WarpLoadAlgorithmE0EdEvPT3_S3_,comdat
	.protected	_Z16warp_load_kernelILj256ELj32ELj64ELN6hipcub17WarpLoadAlgorithmE0EdEvPT3_S3_ ; -- Begin function _Z16warp_load_kernelILj256ELj32ELj64ELN6hipcub17WarpLoadAlgorithmE0EdEvPT3_S3_
	.globl	_Z16warp_load_kernelILj256ELj32ELj64ELN6hipcub17WarpLoadAlgorithmE0EdEvPT3_S3_
	.p2align	8
	.type	_Z16warp_load_kernelILj256ELj32ELj64ELN6hipcub17WarpLoadAlgorithmE0EdEvPT3_S3_,@function
_Z16warp_load_kernelILj256ELj32ELj64ELN6hipcub17WarpLoadAlgorithmE0EdEvPT3_S3_: ; @_Z16warp_load_kernelILj256ELj32ELj64ELN6hipcub17WarpLoadAlgorithmE0EdEvPT3_S3_
; %bb.0:
	s_load_dwordx4 s[0:3], s[4:5], 0x0
	v_lshlrev_b32_e32 v1, 5, v0
	s_lshl_b32 s4, s6, 13
	v_mov_b32_e32 v46, 0
	v_mbcnt_lo_u32_b32 v3, -1, 0
	v_and_or_b32 v45, 0x1800, v1, s4
	v_mov_b32_e32 v68, v46
	v_lshlrev_b32_e32 v3, 8, v3
	v_mov_b32_e32 v72, v46
	v_lshlrev_b64 v[1:2], 3, v[45:46]
	v_or_b32_e32 v45, s4, v0
	v_mov_b32_e32 v74, v46
	v_mov_b32_e32 v76, v46
	;; [unrolled: 1-line block ×3, first 2 shown]
	v_lshlrev_b64 v[69:70], 3, v[45:46]
	v_or_b32_e32 v67, 0x100, v45
	v_or_b32_e32 v71, 0x200, v45
	s_waitcnt lgkmcnt(0)
	v_add_co_u32 v1, vcc_lo, s0, v1
	v_add_co_ci_u32_e64 v2, null, s1, v2, vcc_lo
	v_lshlrev_b64 v[67:68], 3, v[67:68]
	v_add_co_u32 v13, vcc_lo, v1, v3
	v_add_co_ci_u32_e64 v14, null, 0, v2, vcc_lo
	v_add_co_u32 v69, vcc_lo, s2, v69
	v_add_co_ci_u32_e64 v70, null, s3, v70, vcc_lo
	s_clause 0xf
	global_load_dwordx4 v[47:50], v[13:14], off
	global_load_dwordx4 v[51:54], v[13:14], off offset:16
	global_load_dwordx4 v[55:58], v[13:14], off offset:32
	;; [unrolled: 1-line block ×15, first 2 shown]
	v_add_co_u32 v67, vcc_lo, s2, v67
	v_add_co_ci_u32_e64 v68, null, s3, v68, vcc_lo
	v_or_b32_e32 v73, 0x300, v45
	v_or_b32_e32 v75, 0x400, v45
	;; [unrolled: 1-line block ×3, first 2 shown]
	s_waitcnt vmcnt(15)
	global_store_dwordx2 v[69:70], v[47:48], off
	v_lshlrev_b64 v[69:70], 3, v[71:72]
	v_mov_b32_e32 v48, v46
	v_or_b32_e32 v47, 0x500, v45
	v_lshlrev_b64 v[71:72], 3, v[73:74]
	global_store_dwordx2 v[67:68], v[49:50], off
	v_mov_b32_e32 v50, v46
	v_add_co_u32 v69, vcc_lo, s2, v69
	v_add_co_ci_u32_e64 v70, null, s3, v70, vcc_lo
	v_or_b32_e32 v49, 0x600, v45
	v_lshlrev_b64 v[47:48], 3, v[47:48]
	v_add_co_u32 v71, vcc_lo, s2, v71
	s_waitcnt vmcnt(14)
	global_store_dwordx2 v[69:70], v[51:52], off
	v_lshlrev_b64 v[69:70], 3, v[75:76]
	v_lshlrev_b64 v[49:50], 3, v[49:50]
	v_add_co_ci_u32_e64 v72, null, s3, v72, vcc_lo
	v_mov_b32_e32 v68, v46
	v_or_b32_e32 v67, 0x700, v45
	v_add_co_u32 v69, vcc_lo, s2, v69
	v_add_co_ci_u32_e64 v70, null, s3, v70, vcc_lo
	v_add_co_u32 v47, vcc_lo, s2, v47
	v_add_co_ci_u32_e64 v48, null, s3, v48, vcc_lo
	;; [unrolled: 2-line block ×3, first 2 shown]
	v_mov_b32_e32 v73, v46
	global_store_dwordx2 v[71:72], v[53:54], off
	v_or_b32_e32 v72, 0x800, v45
	v_mov_b32_e32 v51, v46
	s_waitcnt vmcnt(12)
	global_store_dwordx2 v[49:50], v[59:60], off
	v_or_b32_e32 v50, 0x900, v45
	v_lshlrev_b64 v[67:68], 3, v[67:68]
	v_lshlrev_b64 v[72:73], 3, v[72:73]
	v_mov_b32_e32 v53, v46
	v_or_b32_e32 v52, 0xa00, v45
	v_lshlrev_b64 v[49:50], 3, v[50:51]
	v_mov_b32_e32 v71, v46
	v_add_co_u32 v67, vcc_lo, s2, v67
	v_add_co_ci_u32_e64 v68, null, s3, v68, vcc_lo
	v_add_co_u32 v72, vcc_lo, s2, v72
	v_add_co_ci_u32_e64 v73, null, s3, v73, vcc_lo
	v_add_co_u32 v49, vcc_lo, s2, v49
	global_store_dwordx2 v[69:70], v[55:56], off
	v_add_co_ci_u32_e64 v50, null, s3, v50, vcc_lo
	v_or_b32_e32 v70, 0xb00, v45
	s_waitcnt vmcnt(11)
	global_store_dwordx2 v[72:73], v[63:64], off
	v_lshlrev_b64 v[72:73], 3, v[52:53]
	global_store_dwordx2 v[49:50], v[65:66], off
	v_mov_b32_e32 v54, v46
	v_lshlrev_b64 v[49:50], 3, v[70:71]
	v_or_b32_e32 v53, 0xc00, v45
	v_mov_b32_e32 v56, v46
	v_add_co_u32 v70, vcc_lo, s2, v72
	v_add_co_ci_u32_e64 v71, null, s3, v73, vcc_lo
	v_add_co_u32 v49, vcc_lo, s2, v49
	v_add_co_ci_u32_e64 v50, null, s3, v50, vcc_lo
	v_or_b32_e32 v55, 0xd00, v45
	v_lshlrev_b64 v[52:53], 3, v[53:54]
	global_store_dwordx2 v[47:48], v[57:58], off
	s_waitcnt vmcnt(10)
	global_store_dwordx2 v[49:50], v[43:44], off
	v_mov_b32_e32 v48, v46
	v_lshlrev_b64 v[49:50], 3, v[55:56]
	v_or_b32_e32 v47, 0xe00, v45
	v_mov_b32_e32 v57, v46
	v_or_b32_e32 v56, 0xf00, v45
	v_add_co_u32 v52, vcc_lo, s2, v52
	v_mov_b32_e32 v69, v46
	global_store_dwordx2 v[67:68], v[61:62], off
	v_or_b32_e32 v68, 0x1000, v45
	v_add_co_ci_u32_e64 v53, null, s3, v53, vcc_lo
	v_add_co_u32 v49, vcc_lo, s2, v49
	v_lshlrev_b64 v[47:48], 3, v[47:48]
	v_mov_b32_e32 v59, v46
	v_or_b32_e32 v58, 0x1100, v45
	v_add_co_ci_u32_e64 v50, null, s3, v50, vcc_lo
	v_lshlrev_b64 v[55:56], 3, v[56:57]
	v_mov_b32_e32 v61, v46
	v_or_b32_e32 v60, 0x1200, v45
	v_lshlrev_b64 v[68:69], 3, v[68:69]
	v_mov_b32_e32 v67, v46
	v_or_b32_e32 v66, 0x1300, v45
	v_lshlrev_b64 v[57:58], 3, v[58:59]
	v_add_co_u32 v47, vcc_lo, s2, v47
	s_waitcnt vmcnt(9)
	global_store_dwordx2 v[49:50], v[39:40], off
	v_or_b32_e32 v50, 0x1400, v45
	v_lshlrev_b64 v[59:60], 3, v[60:61]
	v_add_co_ci_u32_e64 v48, null, s3, v48, vcc_lo
	v_add_co_u32 v55, vcc_lo, s2, v55
	v_mov_b32_e32 v63, v46
	v_or_b32_e32 v62, 0x1500, v45
	v_lshlrev_b64 v[66:67], 3, v[66:67]
	v_add_co_ci_u32_e64 v56, null, s3, v56, vcc_lo
	v_add_co_u32 v68, vcc_lo, s2, v68
	v_mov_b32_e32 v65, v46
	v_or_b32_e32 v64, 0x1600, v45
	v_lshlrev_b64 v[49:50], 3, v[50:51]
	v_add_co_ci_u32_e64 v69, null, s3, v69, vcc_lo
	v_add_co_u32 v57, vcc_lo, s2, v57
	v_or_b32_e32 v73, 0x1700, v45
	global_store_dwordx2 v[52:53], v[37:38], off
	v_lshlrev_b64 v[51:52], 3, v[62:63]
	v_add_co_ci_u32_e64 v58, null, s3, v58, vcc_lo
	v_add_co_u32 v59, vcc_lo, s2, v59
	v_mov_b32_e32 v72, v46
	global_store_dwordx2 v[70:71], v[41:42], off
	v_or_b32_e32 v71, 0x1800, v45
	v_lshlrev_b64 v[61:62], 3, v[64:65]
	v_add_co_ci_u32_e64 v60, null, s3, v60, vcc_lo
	v_add_co_u32 v65, vcc_lo, s2, v66
	v_mov_b32_e32 v41, v46
	v_or_b32_e32 v40, 0x1900, v45
	v_lshlrev_b64 v[63:64], 3, v[73:74]
	v_add_co_ci_u32_e64 v66, null, s3, v67, vcc_lo
	v_add_co_u32 v49, vcc_lo, s2, v49
	v_mov_b32_e32 v43, v46
	v_or_b32_e32 v42, 0x1a00, v45
	v_lshlrev_b64 v[70:71], 3, v[71:72]
	v_add_co_ci_u32_e64 v50, null, s3, v50, vcc_lo
	v_add_co_u32 v51, vcc_lo, s2, v51
	v_or_b32_e32 v53, 0x1b00, v45
	v_lshlrev_b64 v[39:40], 3, v[40:41]
	v_add_co_ci_u32_e64 v52, null, s3, v52, vcc_lo
	v_add_co_u32 v61, vcc_lo, s2, v61
	;; [unrolled: 4-line block ×3, first 2 shown]
	v_mov_b32_e32 v38, v46
	v_or_b32_e32 v37, 0x1d00, v45
	v_lshlrev_b64 v[43:44], 3, v[53:54]
	v_add_co_ci_u32_e64 v64, null, s3, v64, vcc_lo
	v_add_co_u32 v70, vcc_lo, s2, v70
	v_lshlrev_b64 v[53:54], 3, v[75:76]
	v_add_co_ci_u32_e64 v71, null, s3, v71, vcc_lo
	v_add_co_u32 v39, vcc_lo, s2, v39
	v_or_b32_e32 v45, 0x1f00, v45
	v_lshlrev_b64 v[37:38], 3, v[37:38]
	v_add_co_ci_u32_e64 v40, null, s3, v40, vcc_lo
	v_add_co_u32 v41, vcc_lo, s2, v41
	v_lshlrev_b64 v[72:73], 3, v[77:78]
	v_add_co_ci_u32_e64 v42, null, s3, v42, vcc_lo
	v_add_co_u32 v43, vcc_lo, s2, v43
	;; [unrolled: 3-line block ×3, first 2 shown]
	v_add_co_ci_u32_e64 v54, null, s3, v54, vcc_lo
	v_add_co_u32 v37, vcc_lo, s2, v37
	v_add_co_ci_u32_e64 v38, null, s3, v38, vcc_lo
	v_add_co_u32 v72, vcc_lo, s2, v72
	;; [unrolled: 2-line block ×3, first 2 shown]
	v_add_co_ci_u32_e64 v46, null, s3, v46, vcc_lo
	s_waitcnt vmcnt(8)
	global_store_dwordx2 v[47:48], v[1:2], off
	global_store_dwordx2 v[55:56], v[3:4], off
	s_waitcnt vmcnt(7)
	global_store_dwordx2 v[68:69], v[5:6], off
	global_store_dwordx2 v[57:58], v[7:8], off
	;; [unrolled: 3-line block ×9, first 2 shown]
	s_endpgm
	.section	.rodata,"a",@progbits
	.p2align	6, 0x0
	.amdhsa_kernel _Z16warp_load_kernelILj256ELj32ELj64ELN6hipcub17WarpLoadAlgorithmE0EdEvPT3_S3_
		.amdhsa_group_segment_fixed_size 0
		.amdhsa_private_segment_fixed_size 0
		.amdhsa_kernarg_size 16
		.amdhsa_user_sgpr_count 6
		.amdhsa_user_sgpr_private_segment_buffer 1
		.amdhsa_user_sgpr_dispatch_ptr 0
		.amdhsa_user_sgpr_queue_ptr 0
		.amdhsa_user_sgpr_kernarg_segment_ptr 1
		.amdhsa_user_sgpr_dispatch_id 0
		.amdhsa_user_sgpr_flat_scratch_init 0
		.amdhsa_user_sgpr_private_segment_size 0
		.amdhsa_wavefront_size32 1
		.amdhsa_uses_dynamic_stack 0
		.amdhsa_system_sgpr_private_segment_wavefront_offset 0
		.amdhsa_system_sgpr_workgroup_id_x 1
		.amdhsa_system_sgpr_workgroup_id_y 0
		.amdhsa_system_sgpr_workgroup_id_z 0
		.amdhsa_system_sgpr_workgroup_info 0
		.amdhsa_system_vgpr_workitem_id 0
		.amdhsa_next_free_vgpr 79
		.amdhsa_next_free_sgpr 7
		.amdhsa_reserve_vcc 1
		.amdhsa_reserve_flat_scratch 0
		.amdhsa_float_round_mode_32 0
		.amdhsa_float_round_mode_16_64 0
		.amdhsa_float_denorm_mode_32 3
		.amdhsa_float_denorm_mode_16_64 3
		.amdhsa_dx10_clamp 1
		.amdhsa_ieee_mode 1
		.amdhsa_fp16_overflow 0
		.amdhsa_workgroup_processor_mode 1
		.amdhsa_memory_ordered 1
		.amdhsa_forward_progress 1
		.amdhsa_shared_vgpr_count 0
		.amdhsa_exception_fp_ieee_invalid_op 0
		.amdhsa_exception_fp_denorm_src 0
		.amdhsa_exception_fp_ieee_div_zero 0
		.amdhsa_exception_fp_ieee_overflow 0
		.amdhsa_exception_fp_ieee_underflow 0
		.amdhsa_exception_fp_ieee_inexact 0
		.amdhsa_exception_int_div_zero 0
	.end_amdhsa_kernel
	.section	.text._Z16warp_load_kernelILj256ELj32ELj64ELN6hipcub17WarpLoadAlgorithmE0EdEvPT3_S3_,"axG",@progbits,_Z16warp_load_kernelILj256ELj32ELj64ELN6hipcub17WarpLoadAlgorithmE0EdEvPT3_S3_,comdat
.Lfunc_end67:
	.size	_Z16warp_load_kernelILj256ELj32ELj64ELN6hipcub17WarpLoadAlgorithmE0EdEvPT3_S3_, .Lfunc_end67-_Z16warp_load_kernelILj256ELj32ELj64ELN6hipcub17WarpLoadAlgorithmE0EdEvPT3_S3_
                                        ; -- End function
	.set _Z16warp_load_kernelILj256ELj32ELj64ELN6hipcub17WarpLoadAlgorithmE0EdEvPT3_S3_.num_vgpr, 79
	.set _Z16warp_load_kernelILj256ELj32ELj64ELN6hipcub17WarpLoadAlgorithmE0EdEvPT3_S3_.num_agpr, 0
	.set _Z16warp_load_kernelILj256ELj32ELj64ELN6hipcub17WarpLoadAlgorithmE0EdEvPT3_S3_.numbered_sgpr, 7
	.set _Z16warp_load_kernelILj256ELj32ELj64ELN6hipcub17WarpLoadAlgorithmE0EdEvPT3_S3_.num_named_barrier, 0
	.set _Z16warp_load_kernelILj256ELj32ELj64ELN6hipcub17WarpLoadAlgorithmE0EdEvPT3_S3_.private_seg_size, 0
	.set _Z16warp_load_kernelILj256ELj32ELj64ELN6hipcub17WarpLoadAlgorithmE0EdEvPT3_S3_.uses_vcc, 1
	.set _Z16warp_load_kernelILj256ELj32ELj64ELN6hipcub17WarpLoadAlgorithmE0EdEvPT3_S3_.uses_flat_scratch, 0
	.set _Z16warp_load_kernelILj256ELj32ELj64ELN6hipcub17WarpLoadAlgorithmE0EdEvPT3_S3_.has_dyn_sized_stack, 0
	.set _Z16warp_load_kernelILj256ELj32ELj64ELN6hipcub17WarpLoadAlgorithmE0EdEvPT3_S3_.has_recursion, 0
	.set _Z16warp_load_kernelILj256ELj32ELj64ELN6hipcub17WarpLoadAlgorithmE0EdEvPT3_S3_.has_indirect_call, 0
	.section	.AMDGPU.csdata,"",@progbits
; Kernel info:
; codeLenInByte = 1664
; TotalNumSgprs: 9
; NumVgprs: 79
; ScratchSize: 0
; MemoryBound: 1
; FloatMode: 240
; IeeeMode: 1
; LDSByteSize: 0 bytes/workgroup (compile time only)
; SGPRBlocks: 0
; VGPRBlocks: 9
; NumSGPRsForWavesPerEU: 9
; NumVGPRsForWavesPerEU: 79
; Occupancy: 12
; WaveLimiterHint : 1
; COMPUTE_PGM_RSRC2:SCRATCH_EN: 0
; COMPUTE_PGM_RSRC2:USER_SGPR: 6
; COMPUTE_PGM_RSRC2:TRAP_HANDLER: 0
; COMPUTE_PGM_RSRC2:TGID_X_EN: 1
; COMPUTE_PGM_RSRC2:TGID_Y_EN: 0
; COMPUTE_PGM_RSRC2:TGID_Z_EN: 0
; COMPUTE_PGM_RSRC2:TIDIG_COMP_CNT: 0
	.section	.text._Z16warp_load_kernelILj256ELj32ELj64ELN6hipcub17WarpLoadAlgorithmE1EdEvPT3_S3_,"axG",@progbits,_Z16warp_load_kernelILj256ELj32ELj64ELN6hipcub17WarpLoadAlgorithmE1EdEvPT3_S3_,comdat
	.protected	_Z16warp_load_kernelILj256ELj32ELj64ELN6hipcub17WarpLoadAlgorithmE1EdEvPT3_S3_ ; -- Begin function _Z16warp_load_kernelILj256ELj32ELj64ELN6hipcub17WarpLoadAlgorithmE1EdEvPT3_S3_
	.globl	_Z16warp_load_kernelILj256ELj32ELj64ELN6hipcub17WarpLoadAlgorithmE1EdEvPT3_S3_
	.p2align	8
	.type	_Z16warp_load_kernelILj256ELj32ELj64ELN6hipcub17WarpLoadAlgorithmE1EdEvPT3_S3_,@function
_Z16warp_load_kernelILj256ELj32ELj64ELN6hipcub17WarpLoadAlgorithmE1EdEvPT3_S3_: ; @_Z16warp_load_kernelILj256ELj32ELj64ELN6hipcub17WarpLoadAlgorithmE1EdEvPT3_S3_
; %bb.0:
	s_load_dwordx4 s[0:3], s[4:5], 0x0
	v_lshlrev_b32_e32 v1, 5, v0
	s_lshl_b32 s4, s6, 13
	v_mov_b32_e32 v2, 0
	v_mbcnt_lo_u32_b32 v5, -1, 0
	v_and_or_b32 v1, 0x1800, v1, s4
	v_mov_b32_e32 v70, v2
	v_mov_b32_e32 v72, v2
	;; [unrolled: 1-line block ×3, first 2 shown]
	v_lshlrev_b64 v[3:4], 3, v[1:2]
	v_lshlrev_b32_e32 v1, 3, v5
	v_mov_b32_e32 v76, v2
	v_mov_b32_e32 v78, v2
	s_waitcnt lgkmcnt(0)
	v_add_co_u32 v3, vcc_lo, s0, v3
	v_add_co_ci_u32_e64 v4, null, s1, v4, vcc_lo
	v_add_co_u32 v3, vcc_lo, v3, v1
	v_add_co_ci_u32_e64 v4, null, 0, v4, vcc_lo
	v_or_b32_e32 v1, s4, v0
	v_add_co_u32 v5, vcc_lo, v3, 0x1000
	s_clause 0x3
	global_load_dwordx2 v[49:50], v[3:4], off
	global_load_dwordx2 v[51:52], v[3:4], off offset:512
	global_load_dwordx2 v[53:54], v[3:4], off offset:1024
	;; [unrolled: 1-line block ×3, first 2 shown]
	v_add_co_ci_u32_e64 v6, null, 0, v4, vcc_lo
	v_add_co_u32 v7, vcc_lo, 0x800, v3
	v_add_co_ci_u32_e64 v8, null, 0, v4, vcc_lo
	s_clause 0x4
	global_load_dwordx2 v[57:58], v[5:6], off offset:-2048
	global_load_dwordx2 v[59:60], v[7:8], off offset:512
	global_load_dwordx2 v[61:62], v[7:8], off offset:1024
	;; [unrolled: 1-line block ×3, first 2 shown]
	global_load_dwordx2 v[65:66], v[5:6], off
	v_add_co_u32 v5, vcc_lo, 0x1000, v3
	v_add_co_ci_u32_e64 v6, null, 0, v4, vcc_lo
	s_clause 0x1
	global_load_dwordx2 v[47:48], v[5:6], off offset:512
	global_load_dwordx2 v[45:46], v[5:6], off offset:1024
	v_add_co_u32 v11, vcc_lo, v3, 0x2000
	v_add_co_ci_u32_e64 v12, null, 0, v4, vcc_lo
	s_clause 0x1
	global_load_dwordx2 v[43:44], v[5:6], off offset:1536
	global_load_dwordx2 v[41:42], v[11:12], off offset:-2048
	v_add_co_u32 v9, vcc_lo, 0x1800, v3
	v_add_co_ci_u32_e64 v10, null, 0, v4, vcc_lo
	v_add_co_u32 v17, vcc_lo, 0x2000, v3
	v_add_co_ci_u32_e64 v18, null, 0, v4, vcc_lo
	;; [unrolled: 2-line block ×6, first 2 shown]
	s_clause 0x12
	global_load_dwordx2 v[5:6], v[9:10], off offset:512
	global_load_dwordx2 v[7:8], v[9:10], off offset:1024
	;; [unrolled: 1-line block ×3, first 2 shown]
	global_load_dwordx2 v[11:12], v[11:12], off
	global_load_dwordx2 v[13:14], v[17:18], off offset:512
	global_load_dwordx2 v[15:16], v[17:18], off offset:1024
	;; [unrolled: 1-line block ×3, first 2 shown]
	global_load_dwordx2 v[19:20], v[27:28], off offset:-2048
	global_load_dwordx2 v[21:22], v[25:26], off offset:512
	global_load_dwordx2 v[23:24], v[25:26], off offset:1024
	;; [unrolled: 1-line block ×3, first 2 shown]
	global_load_dwordx2 v[27:28], v[27:28], off
	global_load_dwordx2 v[29:30], v[33:34], off offset:512
	global_load_dwordx2 v[31:32], v[33:34], off offset:1024
	;; [unrolled: 1-line block ×3, first 2 shown]
	global_load_dwordx2 v[35:36], v[3:4], off
	global_load_dwordx2 v[37:38], v[3:4], off offset:512
	global_load_dwordx2 v[39:40], v[3:4], off offset:1024
	;; [unrolled: 1-line block ×3, first 2 shown]
	v_lshlrev_b64 v[67:68], 3, v[1:2]
	v_or_b32_e32 v69, 0x100, v1
	v_or_b32_e32 v71, 0x200, v1
	;; [unrolled: 1-line block ×5, first 2 shown]
	v_add_co_u32 v67, vcc_lo, s2, v67
	v_add_co_ci_u32_e64 v68, null, s3, v68, vcc_lo
	v_lshlrev_b64 v[69:70], 3, v[69:70]
	v_add_co_u32 v69, vcc_lo, s2, v69
	v_add_co_ci_u32_e64 v70, null, s3, v70, vcc_lo
	s_waitcnt vmcnt(31)
	global_store_dwordx2 v[67:68], v[49:50], off
	v_lshlrev_b64 v[67:68], 3, v[71:72]
	s_waitcnt vmcnt(30)
	global_store_dwordx2 v[69:70], v[51:52], off
	v_lshlrev_b64 v[69:70], 3, v[73:74]
	v_mov_b32_e32 v50, v2
	v_or_b32_e32 v49, 0x500, v1
	v_mov_b32_e32 v71, v2
	v_add_co_u32 v67, vcc_lo, s2, v67
	v_add_co_ci_u32_e64 v68, null, s3, v68, vcc_lo
	v_lshlrev_b64 v[73:74], 3, v[49:50]
	v_mov_b32_e32 v51, v2
	v_or_b32_e32 v50, 0x700, v1
	s_waitcnt vmcnt(29)
	global_store_dwordx2 v[67:68], v[53:54], off
	v_lshlrev_b64 v[53:54], 3, v[75:76]
	v_add_co_u32 v67, vcc_lo, s2, v69
	v_add_co_ci_u32_e64 v68, null, s3, v70, vcc_lo
	v_or_b32_e32 v70, 0x600, v1
	v_add_co_u32 v53, vcc_lo, s2, v53
	v_add_co_ci_u32_e64 v54, null, s3, v54, vcc_lo
	s_waitcnt vmcnt(28)
	global_store_dwordx2 v[67:68], v[55:56], off
	v_add_co_u32 v56, vcc_lo, s2, v73
	s_waitcnt vmcnt(27)
	global_store_dwordx2 v[53:54], v[57:58], off
	v_lshlrev_b64 v[53:54], 3, v[70:71]
	v_lshlrev_b64 v[50:51], 3, v[50:51]
	v_add_co_ci_u32_e64 v57, null, s3, v74, vcc_lo
	v_or_b32_e32 v71, 0x800, v1
	v_mov_b32_e32 v52, v2
	v_add_co_u32 v53, vcc_lo, s2, v53
	v_add_co_ci_u32_e64 v54, null, s3, v54, vcc_lo
	v_add_co_u32 v70, vcc_lo, s2, v50
	v_mov_b32_e32 v69, v2
	s_waitcnt vmcnt(25)
	global_store_dwordx2 v[53:54], v[61:62], off
	v_lshlrev_b64 v[61:62], 3, v[71:72]
	v_add_co_ci_u32_e64 v71, null, s3, v51, vcc_lo
	v_or_b32_e32 v51, 0x900, v1
	v_or_b32_e32 v68, 0xa00, v1
	v_mov_b32_e32 v55, v2
	v_add_co_u32 v61, vcc_lo, s2, v61
	v_lshlrev_b64 v[50:51], 3, v[51:52]
	v_add_co_ci_u32_e64 v62, null, s3, v62, vcc_lo
	v_or_b32_e32 v54, 0xb00, v1
	v_mov_b32_e32 v67, v2
	v_mov_b32_e32 v49, v2
	v_add_co_u32 v50, vcc_lo, s2, v50
	v_add_co_ci_u32_e64 v51, null, s3, v51, vcc_lo
	s_waitcnt vmcnt(23)
	global_store_dwordx2 v[61:62], v[65:66], off
	v_or_b32_e32 v66, 0xc00, v1
	v_lshlrev_b64 v[61:62], 3, v[68:69]
	s_waitcnt vmcnt(22)
	global_store_dwordx2 v[50:51], v[47:48], off
	v_lshlrev_b64 v[50:51], 3, v[54:55]
	v_or_b32_e32 v48, 0xd00, v1
	v_lshlrev_b64 v[54:55], 3, v[66:67]
	v_mov_b32_e32 v58, v2
	v_add_co_u32 v61, vcc_lo, s2, v61
	v_add_co_ci_u32_e64 v62, null, s3, v62, vcc_lo
	v_add_co_u32 v50, vcc_lo, s2, v50
	v_add_co_ci_u32_e64 v51, null, s3, v51, vcc_lo
	;; [unrolled: 2-line block ×3, first 2 shown]
	global_store_dwordx2 v[56:57], v[59:60], off
	v_or_b32_e32 v57, 0xe00, v1
	v_mov_b32_e32 v56, v2
	s_waitcnt vmcnt(19)
	global_store_dwordx2 v[54:55], v[41:42], off
	v_or_b32_e32 v55, 0xf00, v1
	v_lshlrev_b64 v[48:49], 3, v[48:49]
	v_mov_b32_e32 v60, v2
	v_or_b32_e32 v59, 0x1000, v1
	v_lshlrev_b64 v[57:58], 3, v[57:58]
	v_mov_b32_e32 v53, v2
	v_or_b32_e32 v52, 0x1100, v1
	v_lshlrev_b64 v[54:55], 3, v[55:56]
	global_store_dwordx2 v[70:71], v[63:64], off
	v_or_b32_e32 v71, 0x1200, v1
	v_lshlrev_b64 v[59:60], 3, v[59:60]
	v_add_co_u32 v48, vcc_lo, s2, v48
	v_mov_b32_e32 v63, v2
	global_store_dwordx2 v[61:62], v[45:46], off
	v_or_b32_e32 v62, 0x1300, v1
	v_lshlrev_b64 v[52:53], 3, v[52:53]
	v_add_co_ci_u32_e64 v49, null, s3, v49, vcc_lo
	v_add_co_u32 v56, vcc_lo, s2, v57
	v_mov_b32_e32 v70, v2
	v_or_b32_e32 v69, 0x1400, v1
	v_lshlrev_b64 v[71:72], 3, v[71:72]
	v_add_co_ci_u32_e64 v57, null, s3, v58, vcc_lo
	v_add_co_u32 v54, vcc_lo, s2, v54
	v_mov_b32_e32 v65, v2
	;; [unrolled: 5-line block ×6, first 2 shown]
	global_store_dwordx2 v[50:51], v[43:44], off
	v_or_b32_e32 v44, 0x1900, v1
	v_lshlrev_b64 v[46:47], 3, v[46:47]
	v_add_co_ci_u32_e64 v61, null, s3, v62, vcc_lo
	v_add_co_u32 v69, vcc_lo, s2, v69
	v_or_b32_e32 v75, 0x1a00, v1
	v_lshlrev_b64 v[67:68], 3, v[73:74]
	v_add_co_ci_u32_e64 v70, null, s3, v70, vcc_lo
	v_add_co_u32 v62, vcc_lo, s2, v63
	v_mov_b32_e32 v43, v2
	v_or_b32_e32 v42, 0x1b00, v1
	v_lshlrev_b64 v[44:45], 3, v[44:45]
	v_add_co_ci_u32_e64 v63, null, s3, v64, vcc_lo
	v_add_co_u32 v64, vcc_lo, s2, v65
	v_mov_b32_e32 v51, v2
	v_or_b32_e32 v50, 0x1c00, v1
	v_lshlrev_b64 v[73:74], 3, v[75:76]
	v_add_co_ci_u32_e64 v65, null, s3, v66, vcc_lo
	v_add_co_u32 v46, vcc_lo, s2, v46
	v_lshlrev_b64 v[41:42], 3, v[42:43]
	v_add_co_ci_u32_e64 v47, null, s3, v47, vcc_lo
	v_add_co_u32 v66, vcc_lo, s2, v67
	v_lshlrev_b64 v[75:76], 3, v[77:78]
	v_or_b32_e32 v77, 0x1e00, v1
	v_lshlrev_b64 v[50:51], 3, v[50:51]
	v_add_co_ci_u32_e64 v67, null, s3, v68, vcc_lo
	v_add_co_u32 v43, vcc_lo, s2, v44
	v_or_b32_e32 v1, 0x1f00, v1
	v_add_co_ci_u32_e64 v44, null, s3, v45, vcc_lo
	v_add_co_u32 v73, vcc_lo, s2, v73
	v_add_co_ci_u32_e64 v74, null, s3, v74, vcc_lo
	v_add_co_u32 v41, vcc_lo, s2, v41
	v_lshlrev_b64 v[77:78], 3, v[77:78]
	v_add_co_ci_u32_e64 v42, null, s3, v42, vcc_lo
	v_add_co_u32 v50, vcc_lo, s2, v50
	v_lshlrev_b64 v[0:1], 3, v[1:2]
	v_add_co_ci_u32_e64 v51, null, s3, v51, vcc_lo
	v_add_co_u32 v75, vcc_lo, s2, v75
	v_add_co_ci_u32_e64 v76, null, s3, v76, vcc_lo
	v_add_co_u32 v77, vcc_lo, s2, v77
	;; [unrolled: 2-line block ×3, first 2 shown]
	v_add_co_ci_u32_e64 v1, null, s3, v1, vcc_lo
	s_waitcnt vmcnt(18)
	global_store_dwordx2 v[48:49], v[5:6], off
	s_waitcnt vmcnt(17)
	global_store_dwordx2 v[56:57], v[7:8], off
	;; [unrolled: 2-line block ×19, first 2 shown]
	s_endpgm
	.section	.rodata,"a",@progbits
	.p2align	6, 0x0
	.amdhsa_kernel _Z16warp_load_kernelILj256ELj32ELj64ELN6hipcub17WarpLoadAlgorithmE1EdEvPT3_S3_
		.amdhsa_group_segment_fixed_size 0
		.amdhsa_private_segment_fixed_size 0
		.amdhsa_kernarg_size 16
		.amdhsa_user_sgpr_count 6
		.amdhsa_user_sgpr_private_segment_buffer 1
		.amdhsa_user_sgpr_dispatch_ptr 0
		.amdhsa_user_sgpr_queue_ptr 0
		.amdhsa_user_sgpr_kernarg_segment_ptr 1
		.amdhsa_user_sgpr_dispatch_id 0
		.amdhsa_user_sgpr_flat_scratch_init 0
		.amdhsa_user_sgpr_private_segment_size 0
		.amdhsa_wavefront_size32 1
		.amdhsa_uses_dynamic_stack 0
		.amdhsa_system_sgpr_private_segment_wavefront_offset 0
		.amdhsa_system_sgpr_workgroup_id_x 1
		.amdhsa_system_sgpr_workgroup_id_y 0
		.amdhsa_system_sgpr_workgroup_id_z 0
		.amdhsa_system_sgpr_workgroup_info 0
		.amdhsa_system_vgpr_workitem_id 0
		.amdhsa_next_free_vgpr 79
		.amdhsa_next_free_sgpr 7
		.amdhsa_reserve_vcc 1
		.amdhsa_reserve_flat_scratch 0
		.amdhsa_float_round_mode_32 0
		.amdhsa_float_round_mode_16_64 0
		.amdhsa_float_denorm_mode_32 3
		.amdhsa_float_denorm_mode_16_64 3
		.amdhsa_dx10_clamp 1
		.amdhsa_ieee_mode 1
		.amdhsa_fp16_overflow 0
		.amdhsa_workgroup_processor_mode 1
		.amdhsa_memory_ordered 1
		.amdhsa_forward_progress 1
		.amdhsa_shared_vgpr_count 0
		.amdhsa_exception_fp_ieee_invalid_op 0
		.amdhsa_exception_fp_denorm_src 0
		.amdhsa_exception_fp_ieee_div_zero 0
		.amdhsa_exception_fp_ieee_overflow 0
		.amdhsa_exception_fp_ieee_underflow 0
		.amdhsa_exception_fp_ieee_inexact 0
		.amdhsa_exception_int_div_zero 0
	.end_amdhsa_kernel
	.section	.text._Z16warp_load_kernelILj256ELj32ELj64ELN6hipcub17WarpLoadAlgorithmE1EdEvPT3_S3_,"axG",@progbits,_Z16warp_load_kernelILj256ELj32ELj64ELN6hipcub17WarpLoadAlgorithmE1EdEvPT3_S3_,comdat
.Lfunc_end68:
	.size	_Z16warp_load_kernelILj256ELj32ELj64ELN6hipcub17WarpLoadAlgorithmE1EdEvPT3_S3_, .Lfunc_end68-_Z16warp_load_kernelILj256ELj32ELj64ELN6hipcub17WarpLoadAlgorithmE1EdEvPT3_S3_
                                        ; -- End function
	.set _Z16warp_load_kernelILj256ELj32ELj64ELN6hipcub17WarpLoadAlgorithmE1EdEvPT3_S3_.num_vgpr, 79
	.set _Z16warp_load_kernelILj256ELj32ELj64ELN6hipcub17WarpLoadAlgorithmE1EdEvPT3_S3_.num_agpr, 0
	.set _Z16warp_load_kernelILj256ELj32ELj64ELN6hipcub17WarpLoadAlgorithmE1EdEvPT3_S3_.numbered_sgpr, 7
	.set _Z16warp_load_kernelILj256ELj32ELj64ELN6hipcub17WarpLoadAlgorithmE1EdEvPT3_S3_.num_named_barrier, 0
	.set _Z16warp_load_kernelILj256ELj32ELj64ELN6hipcub17WarpLoadAlgorithmE1EdEvPT3_S3_.private_seg_size, 0
	.set _Z16warp_load_kernelILj256ELj32ELj64ELN6hipcub17WarpLoadAlgorithmE1EdEvPT3_S3_.uses_vcc, 1
	.set _Z16warp_load_kernelILj256ELj32ELj64ELN6hipcub17WarpLoadAlgorithmE1EdEvPT3_S3_.uses_flat_scratch, 0
	.set _Z16warp_load_kernelILj256ELj32ELj64ELN6hipcub17WarpLoadAlgorithmE1EdEvPT3_S3_.has_dyn_sized_stack, 0
	.set _Z16warp_load_kernelILj256ELj32ELj64ELN6hipcub17WarpLoadAlgorithmE1EdEvPT3_S3_.has_recursion, 0
	.set _Z16warp_load_kernelILj256ELj32ELj64ELN6hipcub17WarpLoadAlgorithmE1EdEvPT3_S3_.has_indirect_call, 0
	.section	.AMDGPU.csdata,"",@progbits
; Kernel info:
; codeLenInByte = 2060
; TotalNumSgprs: 9
; NumVgprs: 79
; ScratchSize: 0
; MemoryBound: 1
; FloatMode: 240
; IeeeMode: 1
; LDSByteSize: 0 bytes/workgroup (compile time only)
; SGPRBlocks: 0
; VGPRBlocks: 9
; NumSGPRsForWavesPerEU: 9
; NumVGPRsForWavesPerEU: 79
; Occupancy: 12
; WaveLimiterHint : 1
; COMPUTE_PGM_RSRC2:SCRATCH_EN: 0
; COMPUTE_PGM_RSRC2:USER_SGPR: 6
; COMPUTE_PGM_RSRC2:TRAP_HANDLER: 0
; COMPUTE_PGM_RSRC2:TGID_X_EN: 1
; COMPUTE_PGM_RSRC2:TGID_Y_EN: 0
; COMPUTE_PGM_RSRC2:TGID_Z_EN: 0
; COMPUTE_PGM_RSRC2:TIDIG_COMP_CNT: 0
	.section	.text._Z16warp_load_kernelILj256ELj32ELj64ELN6hipcub17WarpLoadAlgorithmE2EdEvPT3_S3_,"axG",@progbits,_Z16warp_load_kernelILj256ELj32ELj64ELN6hipcub17WarpLoadAlgorithmE2EdEvPT3_S3_,comdat
	.protected	_Z16warp_load_kernelILj256ELj32ELj64ELN6hipcub17WarpLoadAlgorithmE2EdEvPT3_S3_ ; -- Begin function _Z16warp_load_kernelILj256ELj32ELj64ELN6hipcub17WarpLoadAlgorithmE2EdEvPT3_S3_
	.globl	_Z16warp_load_kernelILj256ELj32ELj64ELN6hipcub17WarpLoadAlgorithmE2EdEvPT3_S3_
	.p2align	8
	.type	_Z16warp_load_kernelILj256ELj32ELj64ELN6hipcub17WarpLoadAlgorithmE2EdEvPT3_S3_,@function
_Z16warp_load_kernelILj256ELj32ELj64ELN6hipcub17WarpLoadAlgorithmE2EdEvPT3_S3_: ; @_Z16warp_load_kernelILj256ELj32ELj64ELN6hipcub17WarpLoadAlgorithmE2EdEvPT3_S3_
; %bb.0:
	s_load_dwordx4 s[0:3], s[4:5], 0x0
	v_lshlrev_b32_e32 v1, 5, v0
	s_lshl_b32 s4, s6, 13
	v_mov_b32_e32 v46, 0
	v_mbcnt_lo_u32_b32 v3, -1, 0
	v_and_or_b32 v45, 0x1800, v1, s4
	v_mov_b32_e32 v68, v46
	v_lshlrev_b32_e32 v3, 8, v3
	v_mov_b32_e32 v72, v46
	v_lshlrev_b64 v[1:2], 3, v[45:46]
	v_or_b32_e32 v45, s4, v0
	v_mov_b32_e32 v74, v46
	v_mov_b32_e32 v76, v46
	;; [unrolled: 1-line block ×3, first 2 shown]
	v_lshlrev_b64 v[69:70], 3, v[45:46]
	v_or_b32_e32 v67, 0x100, v45
	v_or_b32_e32 v71, 0x200, v45
	s_waitcnt lgkmcnt(0)
	v_add_co_u32 v1, vcc_lo, s0, v1
	v_add_co_ci_u32_e64 v2, null, s1, v2, vcc_lo
	v_lshlrev_b64 v[67:68], 3, v[67:68]
	v_add_co_u32 v13, vcc_lo, v1, v3
	v_add_co_ci_u32_e64 v14, null, 0, v2, vcc_lo
	v_add_co_u32 v69, vcc_lo, s2, v69
	v_add_co_ci_u32_e64 v70, null, s3, v70, vcc_lo
	s_clause 0xf
	global_load_dwordx4 v[47:50], v[13:14], off
	global_load_dwordx4 v[51:54], v[13:14], off offset:16
	global_load_dwordx4 v[55:58], v[13:14], off offset:32
	global_load_dwordx4 v[59:62], v[13:14], off offset:48
	global_load_dwordx4 v[63:66], v[13:14], off offset:64
	global_load_dwordx4 v[41:44], v[13:14], off offset:80
	global_load_dwordx4 v[37:40], v[13:14], off offset:96
	global_load_dwordx4 v[1:4], v[13:14], off offset:112
	global_load_dwordx4 v[5:8], v[13:14], off offset:128
	global_load_dwordx4 v[9:12], v[13:14], off offset:144
	global_load_dwordx4 v[33:36], v[13:14], off offset:160
	global_load_dwordx4 v[29:32], v[13:14], off offset:176
	global_load_dwordx4 v[25:28], v[13:14], off offset:192
	global_load_dwordx4 v[21:24], v[13:14], off offset:208
	global_load_dwordx4 v[17:20], v[13:14], off offset:224
	global_load_dwordx4 v[13:16], v[13:14], off offset:240
	v_add_co_u32 v67, vcc_lo, s2, v67
	v_add_co_ci_u32_e64 v68, null, s3, v68, vcc_lo
	v_or_b32_e32 v73, 0x300, v45
	v_or_b32_e32 v75, 0x400, v45
	;; [unrolled: 1-line block ×3, first 2 shown]
	s_waitcnt vmcnt(15)
	global_store_dwordx2 v[69:70], v[47:48], off
	v_lshlrev_b64 v[69:70], 3, v[71:72]
	v_mov_b32_e32 v48, v46
	v_or_b32_e32 v47, 0x500, v45
	v_lshlrev_b64 v[71:72], 3, v[73:74]
	global_store_dwordx2 v[67:68], v[49:50], off
	v_mov_b32_e32 v50, v46
	v_add_co_u32 v69, vcc_lo, s2, v69
	v_add_co_ci_u32_e64 v70, null, s3, v70, vcc_lo
	v_or_b32_e32 v49, 0x600, v45
	v_lshlrev_b64 v[47:48], 3, v[47:48]
	v_add_co_u32 v71, vcc_lo, s2, v71
	s_waitcnt vmcnt(14)
	global_store_dwordx2 v[69:70], v[51:52], off
	v_lshlrev_b64 v[69:70], 3, v[75:76]
	v_lshlrev_b64 v[49:50], 3, v[49:50]
	v_add_co_ci_u32_e64 v72, null, s3, v72, vcc_lo
	v_mov_b32_e32 v68, v46
	v_or_b32_e32 v67, 0x700, v45
	v_add_co_u32 v69, vcc_lo, s2, v69
	v_add_co_ci_u32_e64 v70, null, s3, v70, vcc_lo
	v_add_co_u32 v47, vcc_lo, s2, v47
	v_add_co_ci_u32_e64 v48, null, s3, v48, vcc_lo
	;; [unrolled: 2-line block ×3, first 2 shown]
	v_mov_b32_e32 v73, v46
	global_store_dwordx2 v[71:72], v[53:54], off
	v_or_b32_e32 v72, 0x800, v45
	v_mov_b32_e32 v51, v46
	s_waitcnt vmcnt(12)
	global_store_dwordx2 v[49:50], v[59:60], off
	v_or_b32_e32 v50, 0x900, v45
	v_lshlrev_b64 v[67:68], 3, v[67:68]
	v_lshlrev_b64 v[72:73], 3, v[72:73]
	v_mov_b32_e32 v53, v46
	v_or_b32_e32 v52, 0xa00, v45
	v_lshlrev_b64 v[49:50], 3, v[50:51]
	v_mov_b32_e32 v71, v46
	v_add_co_u32 v67, vcc_lo, s2, v67
	v_add_co_ci_u32_e64 v68, null, s3, v68, vcc_lo
	v_add_co_u32 v72, vcc_lo, s2, v72
	v_add_co_ci_u32_e64 v73, null, s3, v73, vcc_lo
	v_add_co_u32 v49, vcc_lo, s2, v49
	global_store_dwordx2 v[69:70], v[55:56], off
	v_add_co_ci_u32_e64 v50, null, s3, v50, vcc_lo
	v_or_b32_e32 v70, 0xb00, v45
	s_waitcnt vmcnt(11)
	global_store_dwordx2 v[72:73], v[63:64], off
	v_lshlrev_b64 v[72:73], 3, v[52:53]
	global_store_dwordx2 v[49:50], v[65:66], off
	v_mov_b32_e32 v54, v46
	v_lshlrev_b64 v[49:50], 3, v[70:71]
	v_or_b32_e32 v53, 0xc00, v45
	v_mov_b32_e32 v56, v46
	v_add_co_u32 v70, vcc_lo, s2, v72
	v_add_co_ci_u32_e64 v71, null, s3, v73, vcc_lo
	v_add_co_u32 v49, vcc_lo, s2, v49
	v_add_co_ci_u32_e64 v50, null, s3, v50, vcc_lo
	v_or_b32_e32 v55, 0xd00, v45
	v_lshlrev_b64 v[52:53], 3, v[53:54]
	global_store_dwordx2 v[47:48], v[57:58], off
	s_waitcnt vmcnt(10)
	global_store_dwordx2 v[49:50], v[43:44], off
	v_mov_b32_e32 v48, v46
	v_lshlrev_b64 v[49:50], 3, v[55:56]
	v_or_b32_e32 v47, 0xe00, v45
	v_mov_b32_e32 v57, v46
	v_or_b32_e32 v56, 0xf00, v45
	v_add_co_u32 v52, vcc_lo, s2, v52
	v_mov_b32_e32 v69, v46
	global_store_dwordx2 v[67:68], v[61:62], off
	v_or_b32_e32 v68, 0x1000, v45
	v_add_co_ci_u32_e64 v53, null, s3, v53, vcc_lo
	v_add_co_u32 v49, vcc_lo, s2, v49
	v_lshlrev_b64 v[47:48], 3, v[47:48]
	v_mov_b32_e32 v59, v46
	v_or_b32_e32 v58, 0x1100, v45
	v_add_co_ci_u32_e64 v50, null, s3, v50, vcc_lo
	v_lshlrev_b64 v[55:56], 3, v[56:57]
	v_mov_b32_e32 v61, v46
	v_or_b32_e32 v60, 0x1200, v45
	v_lshlrev_b64 v[68:69], 3, v[68:69]
	v_mov_b32_e32 v67, v46
	v_or_b32_e32 v66, 0x1300, v45
	v_lshlrev_b64 v[57:58], 3, v[58:59]
	v_add_co_u32 v47, vcc_lo, s2, v47
	s_waitcnt vmcnt(9)
	global_store_dwordx2 v[49:50], v[39:40], off
	v_or_b32_e32 v50, 0x1400, v45
	v_lshlrev_b64 v[59:60], 3, v[60:61]
	v_add_co_ci_u32_e64 v48, null, s3, v48, vcc_lo
	v_add_co_u32 v55, vcc_lo, s2, v55
	v_mov_b32_e32 v63, v46
	v_or_b32_e32 v62, 0x1500, v45
	v_lshlrev_b64 v[66:67], 3, v[66:67]
	v_add_co_ci_u32_e64 v56, null, s3, v56, vcc_lo
	v_add_co_u32 v68, vcc_lo, s2, v68
	v_mov_b32_e32 v65, v46
	v_or_b32_e32 v64, 0x1600, v45
	v_lshlrev_b64 v[49:50], 3, v[50:51]
	v_add_co_ci_u32_e64 v69, null, s3, v69, vcc_lo
	v_add_co_u32 v57, vcc_lo, s2, v57
	v_or_b32_e32 v73, 0x1700, v45
	global_store_dwordx2 v[52:53], v[37:38], off
	v_lshlrev_b64 v[51:52], 3, v[62:63]
	v_add_co_ci_u32_e64 v58, null, s3, v58, vcc_lo
	v_add_co_u32 v59, vcc_lo, s2, v59
	v_mov_b32_e32 v72, v46
	global_store_dwordx2 v[70:71], v[41:42], off
	v_or_b32_e32 v71, 0x1800, v45
	v_lshlrev_b64 v[61:62], 3, v[64:65]
	v_add_co_ci_u32_e64 v60, null, s3, v60, vcc_lo
	v_add_co_u32 v65, vcc_lo, s2, v66
	v_mov_b32_e32 v41, v46
	v_or_b32_e32 v40, 0x1900, v45
	v_lshlrev_b64 v[63:64], 3, v[73:74]
	v_add_co_ci_u32_e64 v66, null, s3, v67, vcc_lo
	v_add_co_u32 v49, vcc_lo, s2, v49
	v_mov_b32_e32 v43, v46
	v_or_b32_e32 v42, 0x1a00, v45
	v_lshlrev_b64 v[70:71], 3, v[71:72]
	v_add_co_ci_u32_e64 v50, null, s3, v50, vcc_lo
	v_add_co_u32 v51, vcc_lo, s2, v51
	v_or_b32_e32 v53, 0x1b00, v45
	v_lshlrev_b64 v[39:40], 3, v[40:41]
	v_add_co_ci_u32_e64 v52, null, s3, v52, vcc_lo
	v_add_co_u32 v61, vcc_lo, s2, v61
	;; [unrolled: 4-line block ×3, first 2 shown]
	v_mov_b32_e32 v38, v46
	v_or_b32_e32 v37, 0x1d00, v45
	v_lshlrev_b64 v[43:44], 3, v[53:54]
	v_add_co_ci_u32_e64 v64, null, s3, v64, vcc_lo
	v_add_co_u32 v70, vcc_lo, s2, v70
	v_lshlrev_b64 v[53:54], 3, v[75:76]
	v_add_co_ci_u32_e64 v71, null, s3, v71, vcc_lo
	v_add_co_u32 v39, vcc_lo, s2, v39
	v_or_b32_e32 v45, 0x1f00, v45
	v_lshlrev_b64 v[37:38], 3, v[37:38]
	v_add_co_ci_u32_e64 v40, null, s3, v40, vcc_lo
	v_add_co_u32 v41, vcc_lo, s2, v41
	v_lshlrev_b64 v[72:73], 3, v[77:78]
	v_add_co_ci_u32_e64 v42, null, s3, v42, vcc_lo
	v_add_co_u32 v43, vcc_lo, s2, v43
	;; [unrolled: 3-line block ×3, first 2 shown]
	v_add_co_ci_u32_e64 v54, null, s3, v54, vcc_lo
	v_add_co_u32 v37, vcc_lo, s2, v37
	v_add_co_ci_u32_e64 v38, null, s3, v38, vcc_lo
	v_add_co_u32 v72, vcc_lo, s2, v72
	;; [unrolled: 2-line block ×3, first 2 shown]
	v_add_co_ci_u32_e64 v46, null, s3, v46, vcc_lo
	s_waitcnt vmcnt(8)
	global_store_dwordx2 v[47:48], v[1:2], off
	global_store_dwordx2 v[55:56], v[3:4], off
	s_waitcnt vmcnt(7)
	global_store_dwordx2 v[68:69], v[5:6], off
	global_store_dwordx2 v[57:58], v[7:8], off
	;; [unrolled: 3-line block ×9, first 2 shown]
	s_endpgm
	.section	.rodata,"a",@progbits
	.p2align	6, 0x0
	.amdhsa_kernel _Z16warp_load_kernelILj256ELj32ELj64ELN6hipcub17WarpLoadAlgorithmE2EdEvPT3_S3_
		.amdhsa_group_segment_fixed_size 0
		.amdhsa_private_segment_fixed_size 0
		.amdhsa_kernarg_size 16
		.amdhsa_user_sgpr_count 6
		.amdhsa_user_sgpr_private_segment_buffer 1
		.amdhsa_user_sgpr_dispatch_ptr 0
		.amdhsa_user_sgpr_queue_ptr 0
		.amdhsa_user_sgpr_kernarg_segment_ptr 1
		.amdhsa_user_sgpr_dispatch_id 0
		.amdhsa_user_sgpr_flat_scratch_init 0
		.amdhsa_user_sgpr_private_segment_size 0
		.amdhsa_wavefront_size32 1
		.amdhsa_uses_dynamic_stack 0
		.amdhsa_system_sgpr_private_segment_wavefront_offset 0
		.amdhsa_system_sgpr_workgroup_id_x 1
		.amdhsa_system_sgpr_workgroup_id_y 0
		.amdhsa_system_sgpr_workgroup_id_z 0
		.amdhsa_system_sgpr_workgroup_info 0
		.amdhsa_system_vgpr_workitem_id 0
		.amdhsa_next_free_vgpr 79
		.amdhsa_next_free_sgpr 7
		.amdhsa_reserve_vcc 1
		.amdhsa_reserve_flat_scratch 0
		.amdhsa_float_round_mode_32 0
		.amdhsa_float_round_mode_16_64 0
		.amdhsa_float_denorm_mode_32 3
		.amdhsa_float_denorm_mode_16_64 3
		.amdhsa_dx10_clamp 1
		.amdhsa_ieee_mode 1
		.amdhsa_fp16_overflow 0
		.amdhsa_workgroup_processor_mode 1
		.amdhsa_memory_ordered 1
		.amdhsa_forward_progress 1
		.amdhsa_shared_vgpr_count 0
		.amdhsa_exception_fp_ieee_invalid_op 0
		.amdhsa_exception_fp_denorm_src 0
		.amdhsa_exception_fp_ieee_div_zero 0
		.amdhsa_exception_fp_ieee_overflow 0
		.amdhsa_exception_fp_ieee_underflow 0
		.amdhsa_exception_fp_ieee_inexact 0
		.amdhsa_exception_int_div_zero 0
	.end_amdhsa_kernel
	.section	.text._Z16warp_load_kernelILj256ELj32ELj64ELN6hipcub17WarpLoadAlgorithmE2EdEvPT3_S3_,"axG",@progbits,_Z16warp_load_kernelILj256ELj32ELj64ELN6hipcub17WarpLoadAlgorithmE2EdEvPT3_S3_,comdat
.Lfunc_end69:
	.size	_Z16warp_load_kernelILj256ELj32ELj64ELN6hipcub17WarpLoadAlgorithmE2EdEvPT3_S3_, .Lfunc_end69-_Z16warp_load_kernelILj256ELj32ELj64ELN6hipcub17WarpLoadAlgorithmE2EdEvPT3_S3_
                                        ; -- End function
	.set _Z16warp_load_kernelILj256ELj32ELj64ELN6hipcub17WarpLoadAlgorithmE2EdEvPT3_S3_.num_vgpr, 79
	.set _Z16warp_load_kernelILj256ELj32ELj64ELN6hipcub17WarpLoadAlgorithmE2EdEvPT3_S3_.num_agpr, 0
	.set _Z16warp_load_kernelILj256ELj32ELj64ELN6hipcub17WarpLoadAlgorithmE2EdEvPT3_S3_.numbered_sgpr, 7
	.set _Z16warp_load_kernelILj256ELj32ELj64ELN6hipcub17WarpLoadAlgorithmE2EdEvPT3_S3_.num_named_barrier, 0
	.set _Z16warp_load_kernelILj256ELj32ELj64ELN6hipcub17WarpLoadAlgorithmE2EdEvPT3_S3_.private_seg_size, 0
	.set _Z16warp_load_kernelILj256ELj32ELj64ELN6hipcub17WarpLoadAlgorithmE2EdEvPT3_S3_.uses_vcc, 1
	.set _Z16warp_load_kernelILj256ELj32ELj64ELN6hipcub17WarpLoadAlgorithmE2EdEvPT3_S3_.uses_flat_scratch, 0
	.set _Z16warp_load_kernelILj256ELj32ELj64ELN6hipcub17WarpLoadAlgorithmE2EdEvPT3_S3_.has_dyn_sized_stack, 0
	.set _Z16warp_load_kernelILj256ELj32ELj64ELN6hipcub17WarpLoadAlgorithmE2EdEvPT3_S3_.has_recursion, 0
	.set _Z16warp_load_kernelILj256ELj32ELj64ELN6hipcub17WarpLoadAlgorithmE2EdEvPT3_S3_.has_indirect_call, 0
	.section	.AMDGPU.csdata,"",@progbits
; Kernel info:
; codeLenInByte = 1664
; TotalNumSgprs: 9
; NumVgprs: 79
; ScratchSize: 0
; MemoryBound: 1
; FloatMode: 240
; IeeeMode: 1
; LDSByteSize: 0 bytes/workgroup (compile time only)
; SGPRBlocks: 0
; VGPRBlocks: 9
; NumSGPRsForWavesPerEU: 9
; NumVGPRsForWavesPerEU: 79
; Occupancy: 12
; WaveLimiterHint : 1
; COMPUTE_PGM_RSRC2:SCRATCH_EN: 0
; COMPUTE_PGM_RSRC2:USER_SGPR: 6
; COMPUTE_PGM_RSRC2:TRAP_HANDLER: 0
; COMPUTE_PGM_RSRC2:TGID_X_EN: 1
; COMPUTE_PGM_RSRC2:TGID_Y_EN: 0
; COMPUTE_PGM_RSRC2:TGID_Z_EN: 0
; COMPUTE_PGM_RSRC2:TIDIG_COMP_CNT: 0
	.section	.text._Z16warp_load_kernelILj256ELj64ELj64ELN6hipcub17WarpLoadAlgorithmE0EdEvPT3_S3_,"axG",@progbits,_Z16warp_load_kernelILj256ELj64ELj64ELN6hipcub17WarpLoadAlgorithmE0EdEvPT3_S3_,comdat
	.protected	_Z16warp_load_kernelILj256ELj64ELj64ELN6hipcub17WarpLoadAlgorithmE0EdEvPT3_S3_ ; -- Begin function _Z16warp_load_kernelILj256ELj64ELj64ELN6hipcub17WarpLoadAlgorithmE0EdEvPT3_S3_
	.globl	_Z16warp_load_kernelILj256ELj64ELj64ELN6hipcub17WarpLoadAlgorithmE0EdEvPT3_S3_
	.p2align	8
	.type	_Z16warp_load_kernelILj256ELj64ELj64ELN6hipcub17WarpLoadAlgorithmE0EdEvPT3_S3_,@function
_Z16warp_load_kernelILj256ELj64ELj64ELN6hipcub17WarpLoadAlgorithmE0EdEvPT3_S3_: ; @_Z16warp_load_kernelILj256ELj64ELj64ELN6hipcub17WarpLoadAlgorithmE0EdEvPT3_S3_
; %bb.0:
	s_load_dwordx4 s[0:3], s[4:5], 0x0
	v_lshlrev_b32_e32 v1, 6, v0
	s_lshl_b32 s4, s6, 14
	v_mov_b32_e32 v109, 0
	v_mbcnt_lo_u32_b32 v3, -1, 0
	v_and_or_b32 v108, 0x3000, v1, s4
	v_mov_b32_e32 v131, v109
	v_lshlrev_b32_e32 v3, 9, v3
	v_mov_b32_e32 v133, v109
	v_lshlrev_b64 v[1:2], 3, v[108:109]
	v_or_b32_e32 v108, s4, v0
	v_mov_b32_e32 v135, v109
	v_mov_b32_e32 v140, v109
	;; [unrolled: 1-line block ×3, first 2 shown]
	v_or_b32_e32 v0, 0x100, v108
	v_or_b32_e32 v130, 0x200, v108
	;; [unrolled: 1-line block ×3, first 2 shown]
	s_waitcnt lgkmcnt(0)
	v_add_co_u32 v1, vcc_lo, s0, v1
	v_add_co_ci_u32_e64 v2, null, s1, v2, vcc_lo
	v_lshlrev_b64 v[130:131], 3, v[130:131]
	v_add_co_u32 v12, vcc_lo, v1, v3
	v_add_co_ci_u32_e64 v13, null, 0, v2, vcc_lo
	v_mov_b32_e32 v1, v109
	v_lshlrev_b64 v[2:3], 3, v[108:109]
	v_or_b32_e32 v134, 0x400, v108
	s_clause 0x13
	global_load_dwordx4 v[110:113], v[12:13], off
	global_load_dwordx4 v[114:117], v[12:13], off offset:16
	global_load_dwordx4 v[118:121], v[12:13], off offset:32
	;; [unrolled: 1-line block ×19, first 2 shown]
	v_lshlrev_b64 v[0:1], 3, v[0:1]
	v_lshlrev_b64 v[132:133], 3, v[132:133]
	v_add_co_u32 v136, vcc_lo, s2, v2
	v_add_co_ci_u32_e64 v137, null, s3, v3, vcc_lo
	v_add_co_u32 v138, vcc_lo, s2, v0
	v_add_co_ci_u32_e64 v139, null, s3, v1, vcc_lo
	s_clause 0xb
	global_load_dwordx4 v[28:31], v[12:13], off offset:368
	global_load_dwordx4 v[36:39], v[12:13], off offset:352
	;; [unrolled: 1-line block ×12, first 2 shown]
	v_add_co_u32 v130, vcc_lo, s2, v130
	v_add_co_ci_u32_e64 v131, null, s3, v131, vcc_lo
	v_add_co_u32 v132, vcc_lo, s2, v132
	v_add_co_ci_u32_e64 v133, null, s3, v133, vcc_lo
	v_or_b32_e32 v141, 0x2700, v108
	s_waitcnt vmcnt(31)
	global_store_dwordx2 v[136:137], v[110:111], off
	v_mov_b32_e32 v111, v109
	v_or_b32_e32 v110, 0x500, v108
	global_store_dwordx2 v[138:139], v[112:113], off
	v_mov_b32_e32 v113, v109
	v_or_b32_e32 v112, 0x600, v108
	s_waitcnt vmcnt(30)
	global_store_dwordx2 v[130:131], v[114:115], off
	v_lshlrev_b64 v[130:131], 3, v[134:135]
	v_lshlrev_b64 v[110:111], 3, v[110:111]
	v_mov_b32_e32 v136, v109
	v_lshlrev_b64 v[112:113], 3, v[112:113]
	v_or_b32_e32 v135, 0x700, v108
	v_mov_b32_e32 v138, v109
	v_add_co_u32 v130, vcc_lo, s2, v130
	v_add_co_ci_u32_e64 v131, null, s3, v131, vcc_lo
	v_add_co_u32 v110, vcc_lo, s2, v110
	v_add_co_ci_u32_e64 v111, null, s3, v111, vcc_lo
	;; [unrolled: 2-line block ×3, first 2 shown]
	v_or_b32_e32 v137, 0x800, v108
	v_mov_b32_e32 v114, v109
	s_waitcnt vmcnt(29)
	global_store_dwordx2 v[130:131], v[118:119], off
	v_lshlrev_b64 v[130:131], 3, v[135:136]
	s_waitcnt vmcnt(28)
	global_store_dwordx2 v[112:113], v[122:123], off
	v_or_b32_e32 v113, 0x900, v108
	global_store_dwordx2 v[110:111], v[120:121], off
	v_lshlrev_b64 v[121:122], 3, v[137:138]
	global_store_dwordx2 v[132:133], v[116:117], off
	v_add_co_u32 v130, vcc_lo, s2, v130
	v_lshlrev_b64 v[113:114], 3, v[113:114]
	v_add_co_ci_u32_e64 v131, null, s3, v131, vcc_lo
	v_add_co_u32 v121, vcc_lo, s2, v121
	v_mov_b32_e32 v116, v109
	v_or_b32_e32 v115, 0xa00, v108
	v_add_co_ci_u32_e64 v122, null, s3, v122, vcc_lo
	v_add_co_u32 v113, vcc_lo, s2, v113
	v_mov_b32_e32 v132, v109
	global_store_dwordx2 v[130:131], v[124:125], off
	v_add_co_ci_u32_e64 v114, null, s3, v114, vcc_lo
	v_or_b32_e32 v131, 0xb00, v108
	s_waitcnt vmcnt(27)
	global_store_dwordx2 v[121:122], v[126:127], off
	v_lshlrev_b64 v[126:127], 3, v[115:116]
	v_mov_b32_e32 v117, v109
	global_store_dwordx2 v[113:114], v[128:129], off
	v_or_b32_e32 v116, 0xc00, v108
	v_lshlrev_b64 v[128:129], 3, v[131:132]
	v_mov_b32_e32 v119, v109
	v_or_b32_e32 v118, 0xd00, v108
	v_add_co_u32 v126, vcc_lo, s2, v126
	v_lshlrev_b64 v[116:117], 3, v[116:117]
	v_add_co_ci_u32_e64 v127, null, s3, v127, vcc_lo
	v_add_co_u32 v128, vcc_lo, s2, v128
	v_lshlrev_b64 v[118:119], 3, v[118:119]
	v_add_co_ci_u32_e64 v129, null, s3, v129, vcc_lo
	v_add_co_u32 v116, vcc_lo, s2, v116
	v_mov_b32_e32 v111, v109
	s_waitcnt vmcnt(26)
	global_store_dwordx2 v[128:129], v[106:107], off
	v_or_b32_e32 v110, 0xe00, v108
	v_add_co_ci_u32_e64 v117, null, s3, v117, vcc_lo
	v_add_co_u32 v128, vcc_lo, s2, v118
	v_mov_b32_e32 v120, v109
	v_add_co_ci_u32_e64 v129, null, s3, v119, vcc_lo
	v_or_b32_e32 v119, 0xf00, v108
	v_lshlrev_b64 v[110:111], 3, v[110:111]
	s_waitcnt vmcnt(25)
	global_store_dwordx2 v[116:117], v[96:97], off
	v_mov_b32_e32 v133, v109
	v_or_b32_e32 v132, 0x1000, v108
	v_lshlrev_b64 v[116:117], 3, v[119:120]
	v_mov_b32_e32 v112, v109
	v_add_co_u32 v119, vcc_lo, s2, v110
	v_add_co_ci_u32_e64 v120, null, s3, v111, vcc_lo
	v_add_co_u32 v116, vcc_lo, s2, v116
	global_store_dwordx2 v[128:129], v[98:99], off
	v_or_b32_e32 v111, 0x1100, v108
	v_lshlrev_b64 v[128:129], 3, v[132:133]
	v_add_co_ci_u32_e64 v117, null, s3, v117, vcc_lo
	v_mov_b32_e32 v123, v109
	v_or_b32_e32 v122, 0x1200, v108
	v_lshlrev_b64 v[110:111], 3, v[111:112]
	v_mov_b32_e32 v125, v109
	s_waitcnt vmcnt(24)
	global_store_dwordx2 v[116:117], v[66:67], off
	v_add_co_u32 v116, vcc_lo, s2, v128
	v_or_b32_e32 v124, 0x1300, v108
	v_mov_b32_e32 v130, v109
	v_add_co_ci_u32_e64 v117, null, s3, v129, vcc_lo
	v_or_b32_e32 v129, 0x1400, v108
	v_lshlrev_b64 v[122:123], 3, v[122:123]
	v_mov_b32_e32 v121, v109
	global_store_dwordx2 v[119:120], v[64:65], off
	v_or_b32_e32 v120, 0x1500, v108
	v_add_co_u32 v110, vcc_lo, s2, v110
	v_lshlrev_b64 v[124:125], 3, v[124:125]
	v_mov_b32_e32 v113, v109
	v_or_b32_e32 v112, 0x1600, v108
	v_add_co_ci_u32_e64 v111, null, s3, v111, vcc_lo
	v_lshlrev_b64 v[128:129], 3, v[129:130]
	v_mov_b32_e32 v115, v109
	v_or_b32_e32 v114, 0x1700, v108
	v_lshlrev_b64 v[119:120], 3, v[120:121]
	v_add_co_u32 v121, vcc_lo, s2, v122
	v_mov_b32_e32 v134, v109
	v_mov_b32_e32 v118, v109
	s_waitcnt vmcnt(23)
	global_store_dwordx2 v[116:117], v[100:101], off
	v_or_b32_e32 v133, 0x1800, v108
	v_or_b32_e32 v117, 0x1c00, v108
	v_lshlrev_b64 v[112:113], 3, v[112:113]
	v_add_co_ci_u32_e64 v122, null, s3, v123, vcc_lo
	v_add_co_u32 v123, vcc_lo, s2, v124
	global_store_dwordx2 v[126:127], v[104:105], off
	v_mov_b32_e32 v104, v109
	global_store_dwordx2 v[110:111], v[102:103], off
	v_or_b32_e32 v103, 0x1900, v108
	v_lshlrev_b64 v[114:115], 3, v[114:115]
	v_add_co_ci_u32_e64 v124, null, s3, v125, vcc_lo
	v_add_co_u32 v128, vcc_lo, s2, v128
	v_mov_b32_e32 v106, v109
	v_or_b32_e32 v105, 0x1a00, v108
	v_lshlrev_b64 v[133:134], 3, v[133:134]
	v_lshlrev_b64 v[116:117], 3, v[117:118]
	v_add_co_ci_u32_e64 v129, null, s3, v129, vcc_lo
	v_add_co_u32 v118, vcc_lo, s2, v119
	v_mov_b32_e32 v127, v109
	v_mov_b32_e32 v132, v109
	v_or_b32_e32 v126, 0x1b00, v108
	v_or_b32_e32 v131, 0x2300, v108
	v_lshlrev_b64 v[102:103], 3, v[103:104]
	v_add_co_ci_u32_e64 v119, null, s3, v120, vcc_lo
	v_add_co_u32 v112, vcc_lo, s2, v112
	v_lshlrev_b64 v[104:105], 3, v[105:106]
	v_add_co_ci_u32_e64 v113, null, s3, v113, vcc_lo
	v_add_co_u32 v114, vcc_lo, s2, v114
	v_mov_b32_e32 v97, v109
	v_or_b32_e32 v96, 0x1d00, v108
	v_lshlrev_b64 v[106:107], 3, v[126:127]
	v_lshlrev_b64 v[130:131], 3, v[131:132]
	v_add_co_ci_u32_e64 v115, null, s3, v115, vcc_lo
	v_add_co_u32 v132, vcc_lo, s2, v133
	v_mov_b32_e32 v99, v109
	v_or_b32_e32 v98, 0x1e00, v108
	v_add_co_ci_u32_e64 v133, null, s3, v134, vcc_lo
	v_add_co_u32 v102, vcc_lo, s2, v102
	v_or_b32_e32 v135, 0x1f00, v108
	v_lshlrev_b64 v[96:97], 3, v[96:97]
	v_add_co_ci_u32_e64 v103, null, s3, v103, vcc_lo
	v_add_co_u32 v104, vcc_lo, s2, v104
	v_or_b32_e32 v137, 0x2000, v108
	v_lshlrev_b64 v[98:99], 3, v[98:99]
	v_add_co_ci_u32_e64 v105, null, s3, v105, vcc_lo
	v_add_co_u32 v106, vcc_lo, s2, v106
	v_mov_b32_e32 v65, v109
	v_or_b32_e32 v64, 0x2100, v108
	v_lshlrev_b64 v[126:127], 3, v[135:136]
	v_add_co_ci_u32_e64 v107, null, s3, v107, vcc_lo
	v_add_co_u32 v116, vcc_lo, s2, v116
	v_mov_b32_e32 v67, v109
	v_or_b32_e32 v66, 0x2200, v108
	v_lshlrev_b64 v[135:136], 3, v[137:138]
	v_add_co_ci_u32_e64 v117, null, s3, v117, vcc_lo
	v_add_co_u32 v96, vcc_lo, s2, v96
	v_lshlrev_b64 v[64:65], 3, v[64:65]
	v_add_co_ci_u32_e64 v97, null, s3, v97, vcc_lo
	v_add_co_u32 v98, vcc_lo, s2, v98
	v_or_b32_e32 v139, 0x2400, v108
	v_lshlrev_b64 v[66:67], 3, v[66:67]
	v_add_co_ci_u32_e64 v99, null, s3, v99, vcc_lo
	v_add_co_u32 v125, vcc_lo, s2, v126
	v_add_co_ci_u32_e64 v126, null, s3, v127, vcc_lo
	v_add_co_u32 v134, vcc_lo, s2, v135
	v_lshlrev_b64 v[137:138], 3, v[139:140]
	v_add_co_ci_u32_e64 v135, null, s3, v136, vcc_lo
	v_add_co_u32 v64, vcc_lo, s2, v64
	v_mov_b32_e32 v101, v109
	v_or_b32_e32 v100, 0x2500, v108
	v_add_co_ci_u32_e64 v65, null, s3, v65, vcc_lo
	v_add_co_u32 v66, vcc_lo, s2, v66
	v_mov_b32_e32 v111, v109
	v_or_b32_e32 v110, 0x2600, v108
	v_add_co_ci_u32_e64 v67, null, s3, v67, vcc_lo
	v_add_co_u32 v130, vcc_lo, s2, v130
	v_lshlrev_b64 v[100:101], 3, v[100:101]
	v_add_co_ci_u32_e64 v131, null, s3, v131, vcc_lo
	v_add_co_u32 v136, vcc_lo, s2, v137
	v_add_co_ci_u32_e64 v137, null, s3, v138, vcc_lo
	s_waitcnt vmcnt(22)
	global_store_dwordx2 v[121:122], v[52:53], off
	global_store_dwordx2 v[123:124], v[54:55], off
	s_waitcnt vmcnt(21)
	global_store_dwordx2 v[128:129], v[60:61], off
	global_store_dwordx2 v[118:119], v[62:63], off
	;; [unrolled: 3-line block ×9, first 2 shown]
	s_waitcnt vmcnt(13)
	global_store_dwordx2 v[136:137], v[68:69], off
	v_lshlrev_b64 v[52:53], 3, v[110:111]
	v_lshlrev_b64 v[54:55], 3, v[141:142]
	v_or_b32_e32 v56, 0x2800, v108
	v_mov_b32_e32 v57, v109
	v_add_co_u32 v100, vcc_lo, s2, v100
	v_add_co_ci_u32_e64 v101, null, s3, v101, vcc_lo
	v_add_co_u32 v52, vcc_lo, s2, v52
	v_add_co_ci_u32_e64 v53, null, s3, v53, vcc_lo
	v_lshlrev_b64 v[56:57], 3, v[56:57]
	v_add_co_u32 v54, vcc_lo, s2, v54
	v_or_b32_e32 v58, 0x2900, v108
	v_mov_b32_e32 v59, v109
	v_add_co_ci_u32_e64 v55, null, s3, v55, vcc_lo
	v_or_b32_e32 v60, 0x2a00, v108
	v_mov_b32_e32 v61, v109
	global_store_dwordx2 v[100:101], v[70:71], off
	v_add_co_u32 v56, vcc_lo, s2, v56
	s_waitcnt vmcnt(12)
	global_store_dwordx2 v[52:53], v[40:41], off
	global_store_dwordx2 v[54:55], v[42:43], off
	v_lshlrev_b64 v[40:41], 3, v[58:59]
	v_add_co_ci_u32_e64 v57, null, s3, v57, vcc_lo
	v_lshlrev_b64 v[42:43], 3, v[60:61]
	v_or_b32_e32 v52, 0x2c00, v108
	v_mov_b32_e32 v53, v109
	v_add_co_u32 v40, vcc_lo, s2, v40
	s_waitcnt vmcnt(8)
	global_store_dwordx2 v[56:57], v[48:49], off
	v_or_b32_e32 v48, 0x2b00, v108
	v_mov_b32_e32 v49, v109
	v_add_co_ci_u32_e64 v41, null, s3, v41, vcc_lo
	v_add_co_u32 v42, vcc_lo, s2, v42
	v_add_co_ci_u32_e64 v43, null, s3, v43, vcc_lo
	v_lshlrev_b64 v[48:49], 3, v[48:49]
	v_or_b32_e32 v54, 0x2d00, v108
	v_mov_b32_e32 v55, v109
	global_store_dwordx2 v[40:41], v[50:51], off
	global_store_dwordx2 v[42:43], v[44:45], off
	v_or_b32_e32 v44, 0x2e00, v108
	v_mov_b32_e32 v45, v109
	v_lshlrev_b64 v[40:41], 3, v[52:53]
	v_lshlrev_b64 v[42:43], 3, v[54:55]
	v_add_co_u32 v48, vcc_lo, s2, v48
	v_lshlrev_b64 v[44:45], 3, v[44:45]
	v_add_co_ci_u32_e64 v49, null, s3, v49, vcc_lo
	v_add_co_u32 v40, vcc_lo, s2, v40
	v_add_co_ci_u32_e64 v41, null, s3, v41, vcc_lo
	v_add_co_u32 v42, vcc_lo, s2, v42
	global_store_dwordx2 v[48:49], v[46:47], off
	v_add_co_ci_u32_e64 v43, null, s3, v43, vcc_lo
	v_add_co_u32 v44, vcc_lo, s2, v44
	v_or_b32_e32 v46, 0x2f00, v108
	v_mov_b32_e32 v47, v109
	v_add_co_ci_u32_e64 v45, null, s3, v45, vcc_lo
	v_or_b32_e32 v48, 0x3000, v108
	v_mov_b32_e32 v49, v109
	global_store_dwordx2 v[40:41], v[36:37], off
	global_store_dwordx2 v[42:43], v[38:39], off
	v_lshlrev_b64 v[36:37], 3, v[46:47]
	global_store_dwordx2 v[44:45], v[28:29], off
	v_or_b32_e32 v38, 0x3100, v108
	v_lshlrev_b64 v[28:29], 3, v[48:49]
	v_mov_b32_e32 v39, v109
	v_or_b32_e32 v40, 0x3200, v108
	v_add_co_u32 v36, vcc_lo, s2, v36
	v_add_co_ci_u32_e64 v37, null, s3, v37, vcc_lo
	v_add_co_u32 v28, vcc_lo, s2, v28
	v_add_co_ci_u32_e64 v29, null, s3, v29, vcc_lo
	v_mov_b32_e32 v41, v109
	v_lshlrev_b64 v[38:39], 3, v[38:39]
	v_or_b32_e32 v42, 0x3300, v108
	v_mov_b32_e32 v43, v109
	global_store_dwordx2 v[36:37], v[30:31], off
	s_waitcnt vmcnt(4)
	global_store_dwordx2 v[28:29], v[32:33], off
	v_or_b32_e32 v32, 0x3400, v108
	v_mov_b32_e32 v33, v109
	v_lshlrev_b64 v[28:29], 3, v[40:41]
	v_lshlrev_b64 v[30:31], 3, v[42:43]
	v_add_co_u32 v38, vcc_lo, s2, v38
	v_lshlrev_b64 v[32:33], 3, v[32:33]
	v_add_co_ci_u32_e64 v39, null, s3, v39, vcc_lo
	v_add_co_u32 v28, vcc_lo, s2, v28
	v_add_co_ci_u32_e64 v29, null, s3, v29, vcc_lo
	v_add_co_u32 v30, vcc_lo, s2, v30
	global_store_dwordx2 v[38:39], v[34:35], off
	v_add_co_ci_u32_e64 v31, null, s3, v31, vcc_lo
	v_add_co_u32 v32, vcc_lo, s2, v32
	v_or_b32_e32 v34, 0x3500, v108
	v_mov_b32_e32 v35, v109
	v_add_co_ci_u32_e64 v33, null, s3, v33, vcc_lo
	v_or_b32_e32 v36, 0x3600, v108
	v_mov_b32_e32 v37, v109
	global_store_dwordx2 v[28:29], v[24:25], off
	global_store_dwordx2 v[30:31], v[26:27], off
	v_or_b32_e32 v26, 0x3700, v108
	v_mov_b32_e32 v27, v109
	v_lshlrev_b64 v[24:25], 3, v[34:35]
	global_store_dwordx2 v[32:33], v[20:21], off
	v_lshlrev_b64 v[20:21], 3, v[36:37]
	v_or_b32_e32 v28, 0x3800, v108
	v_lshlrev_b64 v[26:27], 3, v[26:27]
	v_mov_b32_e32 v29, v109
	v_add_co_u32 v24, vcc_lo, s2, v24
	v_add_co_ci_u32_e64 v25, null, s3, v25, vcc_lo
	v_add_co_u32 v20, vcc_lo, s2, v20
	v_add_co_ci_u32_e64 v21, null, s3, v21, vcc_lo
	v_add_co_u32 v26, vcc_lo, s2, v26
	v_add_co_ci_u32_e64 v27, null, s3, v27, vcc_lo
	v_or_b32_e32 v30, 0x3900, v108
	v_mov_b32_e32 v31, v109
	global_store_dwordx2 v[24:25], v[22:23], off
	global_store_dwordx2 v[20:21], v[16:17], off
	v_or_b32_e32 v20, 0x3a00, v108
	v_mov_b32_e32 v21, v109
	v_lshlrev_b64 v[16:17], 3, v[28:29]
	global_store_dwordx2 v[26:27], v[18:19], off
	v_lshlrev_b64 v[18:19], 3, v[30:31]
	v_or_b32_e32 v22, 0x3b00, v108
	v_lshlrev_b64 v[20:21], 3, v[20:21]
	v_mov_b32_e32 v23, v109
	v_add_co_u32 v16, vcc_lo, s2, v16
	v_add_co_ci_u32_e64 v17, null, s3, v17, vcc_lo
	v_add_co_u32 v18, vcc_lo, s2, v18
	v_add_co_ci_u32_e64 v19, null, s3, v19, vcc_lo
	;; [unrolled: 2-line block ×3, first 2 shown]
	v_or_b32_e32 v24, 0x3c00, v108
	v_mov_b32_e32 v25, v109
	s_waitcnt vmcnt(0)
	global_store_dwordx2 v[16:17], v[12:13], off
	global_store_dwordx2 v[18:19], v[14:15], off
	v_or_b32_e32 v14, 0x3d00, v108
	v_mov_b32_e32 v15, v109
	v_lshlrev_b64 v[12:13], 3, v[22:23]
	v_or_b32_e32 v16, 0x3e00, v108
	v_mov_b32_e32 v17, v109
	global_store_dwordx2 v[20:21], v[8:9], off
	v_lshlrev_b64 v[8:9], 3, v[24:25]
	v_or_b32_e32 v108, 0x3f00, v108
	v_lshlrev_b64 v[14:15], 3, v[14:15]
	v_add_co_u32 v12, vcc_lo, s2, v12
	v_lshlrev_b64 v[16:17], 3, v[16:17]
	v_add_co_ci_u32_e64 v13, null, s3, v13, vcc_lo
	v_add_co_u32 v8, vcc_lo, s2, v8
	v_lshlrev_b64 v[18:19], 3, v[108:109]
	v_add_co_ci_u32_e64 v9, null, s3, v9, vcc_lo
	v_add_co_u32 v14, vcc_lo, s2, v14
	v_add_co_ci_u32_e64 v15, null, s3, v15, vcc_lo
	v_add_co_u32 v16, vcc_lo, s2, v16
	;; [unrolled: 2-line block ×3, first 2 shown]
	v_add_co_ci_u32_e64 v19, null, s3, v19, vcc_lo
	global_store_dwordx2 v[12:13], v[10:11], off
	global_store_dwordx2 v[8:9], v[4:5], off
	;; [unrolled: 1-line block ×5, first 2 shown]
	s_endpgm
	.section	.rodata,"a",@progbits
	.p2align	6, 0x0
	.amdhsa_kernel _Z16warp_load_kernelILj256ELj64ELj64ELN6hipcub17WarpLoadAlgorithmE0EdEvPT3_S3_
		.amdhsa_group_segment_fixed_size 0
		.amdhsa_private_segment_fixed_size 0
		.amdhsa_kernarg_size 16
		.amdhsa_user_sgpr_count 6
		.amdhsa_user_sgpr_private_segment_buffer 1
		.amdhsa_user_sgpr_dispatch_ptr 0
		.amdhsa_user_sgpr_queue_ptr 0
		.amdhsa_user_sgpr_kernarg_segment_ptr 1
		.amdhsa_user_sgpr_dispatch_id 0
		.amdhsa_user_sgpr_flat_scratch_init 0
		.amdhsa_user_sgpr_private_segment_size 0
		.amdhsa_wavefront_size32 1
		.amdhsa_uses_dynamic_stack 0
		.amdhsa_system_sgpr_private_segment_wavefront_offset 0
		.amdhsa_system_sgpr_workgroup_id_x 1
		.amdhsa_system_sgpr_workgroup_id_y 0
		.amdhsa_system_sgpr_workgroup_id_z 0
		.amdhsa_system_sgpr_workgroup_info 0
		.amdhsa_system_vgpr_workitem_id 0
		.amdhsa_next_free_vgpr 143
		.amdhsa_next_free_sgpr 7
		.amdhsa_reserve_vcc 1
		.amdhsa_reserve_flat_scratch 0
		.amdhsa_float_round_mode_32 0
		.amdhsa_float_round_mode_16_64 0
		.amdhsa_float_denorm_mode_32 3
		.amdhsa_float_denorm_mode_16_64 3
		.amdhsa_dx10_clamp 1
		.amdhsa_ieee_mode 1
		.amdhsa_fp16_overflow 0
		.amdhsa_workgroup_processor_mode 1
		.amdhsa_memory_ordered 1
		.amdhsa_forward_progress 1
		.amdhsa_shared_vgpr_count 0
		.amdhsa_exception_fp_ieee_invalid_op 0
		.amdhsa_exception_fp_denorm_src 0
		.amdhsa_exception_fp_ieee_div_zero 0
		.amdhsa_exception_fp_ieee_overflow 0
		.amdhsa_exception_fp_ieee_underflow 0
		.amdhsa_exception_fp_ieee_inexact 0
		.amdhsa_exception_int_div_zero 0
	.end_amdhsa_kernel
	.section	.text._Z16warp_load_kernelILj256ELj64ELj64ELN6hipcub17WarpLoadAlgorithmE0EdEvPT3_S3_,"axG",@progbits,_Z16warp_load_kernelILj256ELj64ELj64ELN6hipcub17WarpLoadAlgorithmE0EdEvPT3_S3_,comdat
.Lfunc_end70:
	.size	_Z16warp_load_kernelILj256ELj64ELj64ELN6hipcub17WarpLoadAlgorithmE0EdEvPT3_S3_, .Lfunc_end70-_Z16warp_load_kernelILj256ELj64ELj64ELN6hipcub17WarpLoadAlgorithmE0EdEvPT3_S3_
                                        ; -- End function
	.set _Z16warp_load_kernelILj256ELj64ELj64ELN6hipcub17WarpLoadAlgorithmE0EdEvPT3_S3_.num_vgpr, 143
	.set _Z16warp_load_kernelILj256ELj64ELj64ELN6hipcub17WarpLoadAlgorithmE0EdEvPT3_S3_.num_agpr, 0
	.set _Z16warp_load_kernelILj256ELj64ELj64ELN6hipcub17WarpLoadAlgorithmE0EdEvPT3_S3_.numbered_sgpr, 7
	.set _Z16warp_load_kernelILj256ELj64ELj64ELN6hipcub17WarpLoadAlgorithmE0EdEvPT3_S3_.num_named_barrier, 0
	.set _Z16warp_load_kernelILj256ELj64ELj64ELN6hipcub17WarpLoadAlgorithmE0EdEvPT3_S3_.private_seg_size, 0
	.set _Z16warp_load_kernelILj256ELj64ELj64ELN6hipcub17WarpLoadAlgorithmE0EdEvPT3_S3_.uses_vcc, 1
	.set _Z16warp_load_kernelILj256ELj64ELj64ELN6hipcub17WarpLoadAlgorithmE0EdEvPT3_S3_.uses_flat_scratch, 0
	.set _Z16warp_load_kernelILj256ELj64ELj64ELN6hipcub17WarpLoadAlgorithmE0EdEvPT3_S3_.has_dyn_sized_stack, 0
	.set _Z16warp_load_kernelILj256ELj64ELj64ELN6hipcub17WarpLoadAlgorithmE0EdEvPT3_S3_.has_recursion, 0
	.set _Z16warp_load_kernelILj256ELj64ELj64ELN6hipcub17WarpLoadAlgorithmE0EdEvPT3_S3_.has_indirect_call, 0
	.section	.AMDGPU.csdata,"",@progbits
; Kernel info:
; codeLenInByte = 3244
; TotalNumSgprs: 9
; NumVgprs: 143
; ScratchSize: 0
; MemoryBound: 1
; FloatMode: 240
; IeeeMode: 1
; LDSByteSize: 0 bytes/workgroup (compile time only)
; SGPRBlocks: 0
; VGPRBlocks: 17
; NumSGPRsForWavesPerEU: 9
; NumVGPRsForWavesPerEU: 143
; Occupancy: 7
; WaveLimiterHint : 1
; COMPUTE_PGM_RSRC2:SCRATCH_EN: 0
; COMPUTE_PGM_RSRC2:USER_SGPR: 6
; COMPUTE_PGM_RSRC2:TRAP_HANDLER: 0
; COMPUTE_PGM_RSRC2:TGID_X_EN: 1
; COMPUTE_PGM_RSRC2:TGID_Y_EN: 0
; COMPUTE_PGM_RSRC2:TGID_Z_EN: 0
; COMPUTE_PGM_RSRC2:TIDIG_COMP_CNT: 0
	.section	.text._Z16warp_load_kernelILj256ELj64ELj64ELN6hipcub17WarpLoadAlgorithmE1EdEvPT3_S3_,"axG",@progbits,_Z16warp_load_kernelILj256ELj64ELj64ELN6hipcub17WarpLoadAlgorithmE1EdEvPT3_S3_,comdat
	.protected	_Z16warp_load_kernelILj256ELj64ELj64ELN6hipcub17WarpLoadAlgorithmE1EdEvPT3_S3_ ; -- Begin function _Z16warp_load_kernelILj256ELj64ELj64ELN6hipcub17WarpLoadAlgorithmE1EdEvPT3_S3_
	.globl	_Z16warp_load_kernelILj256ELj64ELj64ELN6hipcub17WarpLoadAlgorithmE1EdEvPT3_S3_
	.p2align	8
	.type	_Z16warp_load_kernelILj256ELj64ELj64ELN6hipcub17WarpLoadAlgorithmE1EdEvPT3_S3_,@function
_Z16warp_load_kernelILj256ELj64ELj64ELN6hipcub17WarpLoadAlgorithmE1EdEvPT3_S3_: ; @_Z16warp_load_kernelILj256ELj64ELj64ELN6hipcub17WarpLoadAlgorithmE1EdEvPT3_S3_
; %bb.0:
	s_load_dwordx4 s[0:3], s[4:5], 0x0
	v_lshlrev_b32_e32 v1, 6, v0
	s_lshl_b32 s4, s6, 14
	v_mov_b32_e32 v2, 0
	v_mbcnt_lo_u32_b32 v5, -1, 0
	v_and_or_b32 v1, 0x3000, v1, s4
	v_mov_b32_e32 v126, v2
	v_mov_b32_e32 v128, v2
	;; [unrolled: 1-line block ×3, first 2 shown]
	v_lshlrev_b64 v[3:4], 3, v[1:2]
	v_lshlrev_b32_e32 v1, 3, v5
	s_waitcnt lgkmcnt(0)
	v_add_co_u32 v3, vcc_lo, s0, v3
	v_add_co_ci_u32_e64 v4, null, s1, v4, vcc_lo
	v_add_co_u32 v3, vcc_lo, v3, v1
	v_add_co_ci_u32_e64 v4, null, 0, v4, vcc_lo
	v_or_b32_e32 v1, s4, v0
	v_add_co_u32 v5, vcc_lo, v3, 0x1000
	s_clause 0x3
	global_load_dwordx2 v[75:76], v[3:4], off
	global_load_dwordx2 v[77:78], v[3:4], off offset:512
	global_load_dwordx2 v[79:80], v[3:4], off offset:1024
	;; [unrolled: 1-line block ×3, first 2 shown]
	v_add_co_ci_u32_e64 v6, null, 0, v4, vcc_lo
	v_add_co_u32 v7, vcc_lo, 0x800, v3
	v_add_co_ci_u32_e64 v8, null, 0, v4, vcc_lo
	s_clause 0x3
	global_load_dwordx2 v[83:84], v[5:6], off offset:-2048
	global_load_dwordx2 v[85:86], v[7:8], off offset:512
	global_load_dwordx2 v[87:88], v[7:8], off offset:1024
	;; [unrolled: 1-line block ×3, first 2 shown]
	v_add_co_u32 v7, vcc_lo, 0x1000, v3
	v_add_co_ci_u32_e64 v8, null, 0, v4, vcc_lo
	s_clause 0x1
	global_load_dwordx2 v[91:92], v[5:6], off
	global_load_dwordx2 v[93:94], v[7:8], off offset:512
	v_add_co_u32 v5, vcc_lo, v3, 0x2000
	v_add_co_ci_u32_e64 v6, null, 0, v4, vcc_lo
	v_add_co_u32 v9, vcc_lo, 0x1800, v3
	v_add_co_ci_u32_e64 v10, null, 0, v4, vcc_lo
	;; [unrolled: 2-line block ×5, first 2 shown]
	s_clause 0xd
	global_load_dwordx2 v[95:96], v[7:8], off offset:1024
	global_load_dwordx2 v[97:98], v[7:8], off offset:1536
	global_load_dwordx2 v[99:100], v[5:6], off offset:-2048
	global_load_dwordx2 v[101:102], v[9:10], off offset:512
	global_load_dwordx2 v[103:104], v[9:10], off offset:1024
	;; [unrolled: 1-line block ×3, first 2 shown]
	global_load_dwordx2 v[107:108], v[5:6], off
	global_load_dwordx2 v[109:110], v[11:12], off offset:512
	global_load_dwordx2 v[111:112], v[11:12], off offset:1024
	;; [unrolled: 1-line block ×3, first 2 shown]
	global_load_dwordx2 v[115:116], v[15:16], off offset:-2048
	global_load_dwordx2 v[117:118], v[13:14], off offset:512
	global_load_dwordx2 v[119:120], v[13:14], off offset:1024
	;; [unrolled: 1-line block ×3, first 2 shown]
	v_add_co_u32 v5, vcc_lo, 0x3000, v3
	v_add_co_ci_u32_e64 v6, null, 0, v4, vcc_lo
	s_clause 0x2
	global_load_dwordx2 v[71:72], v[15:16], off
	global_load_dwordx2 v[73:74], v[5:6], off offset:512
	global_load_dwordx2 v[69:70], v[5:6], off offset:1024
	v_add_co_u32 v7, vcc_lo, v3, 0x4000
	v_add_co_ci_u32_e64 v8, null, 0, v4, vcc_lo
	s_clause 0x1
	global_load_dwordx2 v[55:56], v[5:6], off offset:1536
	global_load_dwordx2 v[57:58], v[7:8], off offset:-2048
	v_add_co_u32 v9, vcc_lo, 0x3800, v3
	v_add_co_ci_u32_e64 v10, null, 0, v4, vcc_lo
	v_mov_b32_e32 v6, v2
	v_or_b32_e32 v5, 0x100, v1
	v_lshlrev_b64 v[11:12], 3, v[1:2]
	s_clause 0x3
	global_load_dwordx2 v[123:124], v[9:10], off offset:512
	global_load_dwordx2 v[135:136], v[9:10], off offset:1024
	;; [unrolled: 1-line block ×3, first 2 shown]
	global_load_dwordx2 v[139:140], v[7:8], off
	v_or_b32_e32 v125, 0x200, v1
	v_lshlrev_b64 v[5:6], 3, v[5:6]
	v_or_b32_e32 v127, 0x300, v1
	v_add_co_u32 v131, vcc_lo, s2, v11
	v_add_co_ci_u32_e64 v132, null, s3, v12, vcc_lo
	v_add_co_u32 v133, vcc_lo, s2, v5
	v_add_co_ci_u32_e64 v134, null, s3, v6, vcc_lo
	;; [unrolled: 2-line block ×3, first 2 shown]
	s_clause 0x2
	global_load_dwordx2 v[63:64], v[5:6], off offset:512
	global_load_dwordx2 v[65:66], v[5:6], off offset:1024
	;; [unrolled: 1-line block ×3, first 2 shown]
	v_add_co_u32 v7, vcc_lo, 0x4800, v3
	v_add_co_ci_u32_e64 v8, null, 0, v4, vcc_lo
	v_add_co_u32 v9, vcc_lo, v3, 0x5000
	v_add_co_ci_u32_e64 v10, null, 0, v4, vcc_lo
	global_load_dwordx2 v[59:60], v[7:8], off offset:512
	v_add_co_u32 v11, vcc_lo, 0x5000, v3
	global_load_dwordx2 v[61:62], v[9:10], off offset:-2048
	v_add_co_ci_u32_e64 v12, null, 0, v4, vcc_lo
	v_add_co_u32 v13, vcc_lo, 0x5800, v3
	v_add_co_ci_u32_e64 v14, null, 0, v4, vcc_lo
	v_add_co_u32 v15, vcc_lo, v3, 0x6000
	;; [unrolled: 2-line block ×7, first 2 shown]
	v_add_co_ci_u32_e64 v4, null, 0, v4, vcc_lo
	s_clause 0x19
	global_load_dwordx2 v[49:50], v[9:10], off
	global_load_dwordx2 v[51:52], v[7:8], off offset:1024
	global_load_dwordx2 v[53:54], v[7:8], off offset:1536
	;; [unrolled: 1-line block ×11, first 2 shown]
	global_load_dwordx2 v[41:42], v[15:16], off offset:-2048
	global_load_dwordx2 v[35:36], v[15:16], off
	global_load_dwordx2 v[29:30], v[19:20], off offset:-2048
	global_load_dwordx2 v[13:14], v[19:20], off
	global_load_dwordx2 v[21:22], v[17:18], off offset:512
	global_load_dwordx2 v[23:24], v[17:18], off offset:1024
	;; [unrolled: 1-line block ×6, first 2 shown]
	global_load_dwordx2 v[7:8], v[3:4], off
	global_load_dwordx2 v[9:10], v[3:4], off offset:512
	global_load_dwordx2 v[11:12], v[3:4], off offset:1024
	;; [unrolled: 1-line block ×3, first 2 shown]
	v_lshlrev_b64 v[125:126], 3, v[125:126]
	v_or_b32_e32 v129, 0x400, v1
	v_lshlrev_b64 v[127:128], 3, v[127:128]
	v_mov_b32_e32 v142, v2
	v_or_b32_e32 v141, 0x1600, v1
	v_add_co_u32 v125, vcc_lo, s2, v125
	v_add_co_ci_u32_e64 v126, null, s3, v126, vcc_lo
	v_add_co_u32 v127, vcc_lo, s2, v127
	v_add_co_ci_u32_e64 v128, null, s3, v128, vcc_lo
	v_lshlrev_b64 v[141:142], 3, v[141:142]
	s_waitcnt vmcnt(62)
	global_store_dwordx2 v[131:132], v[75:76], off
	v_mov_b32_e32 v76, v2
	v_or_b32_e32 v75, 0x500, v1
	s_waitcnt vmcnt(61)
	global_store_dwordx2 v[125:126], v[79:80], off
	v_lshlrev_b64 v[79:80], 3, v[129:130]
	v_mov_b32_e32 v131, v2
	v_or_b32_e32 v130, 0x600, v1
	v_lshlrev_b64 v[75:76], 3, v[75:76]
	s_waitcnt vmcnt(60)
	global_store_dwordx2 v[127:128], v[81:82], off
	global_store_dwordx2 v[133:134], v[77:78], off
	v_add_co_u32 v79, vcc_lo, s2, v79
	v_add_co_ci_u32_e64 v80, null, s3, v80, vcc_lo
	v_add_co_u32 v127, vcc_lo, s2, v75
	v_lshlrev_b64 v[133:134], 3, v[130:131]
	v_add_co_ci_u32_e64 v128, null, s3, v76, vcc_lo
	v_mov_b32_e32 v77, v2
	v_or_b32_e32 v76, 0x700, v1
	v_mov_b32_e32 v132, v2
	s_waitcnt vmcnt(58)
	global_store_dwordx2 v[127:128], v[85:86], off
	v_add_co_u32 v127, vcc_lo, s2, v133
	v_or_b32_e32 v131, 0x800, v1
	v_lshlrev_b64 v[75:76], 3, v[76:77]
	v_add_co_ci_u32_e64 v128, null, s3, v134, vcc_lo
	v_mov_b32_e32 v78, v2
	v_or_b32_e32 v77, 0x900, v1
	v_mov_b32_e32 v126, v2
	s_waitcnt vmcnt(57)
	global_store_dwordx2 v[127:128], v[87:88], off
	v_lshlrev_b64 v[127:128], 3, v[131:132]
	v_add_co_u32 v75, vcc_lo, s2, v75
	v_lshlrev_b64 v[77:78], 3, v[77:78]
	v_add_co_ci_u32_e64 v76, null, s3, v76, vcc_lo
	v_add_co_u32 v88, vcc_lo, s2, v127
	v_or_b32_e32 v125, 0xa00, v1
	s_waitcnt vmcnt(56)
	global_store_dwordx2 v[75:76], v[89:90], off
	v_add_co_ci_u32_e64 v89, null, s3, v128, vcc_lo
	v_add_co_u32 v77, vcc_lo, s2, v77
	v_add_co_ci_u32_e64 v78, null, s3, v78, vcc_lo
	v_mov_b32_e32 v81, v2
	global_store_dwordx2 v[79:80], v[83:84], off
	v_or_b32_e32 v80, 0xb00, v1
	v_mov_b32_e32 v129, v2
	v_or_b32_e32 v128, 0xc00, v1
	v_lshlrev_b64 v[125:126], 3, v[125:126]
	v_mov_b32_e32 v79, v2
	s_waitcnt vmcnt(54)
	global_store_dwordx2 v[77:78], v[93:94], off
	v_or_b32_e32 v78, 0xd00, v1
	v_lshlrev_b64 v[80:81], 3, v[80:81]
	v_mov_b32_e32 v83, v2
	v_or_b32_e32 v82, 0xe00, v1
	v_lshlrev_b64 v[127:128], 3, v[128:129]
	v_mov_b32_e32 v85, v2
	v_or_b32_e32 v84, 0xf00, v1
	v_lshlrev_b64 v[77:78], 3, v[78:79]
	v_add_co_u32 v125, vcc_lo, s2, v125
	v_mov_b32_e32 v133, v2
	v_or_b32_e32 v132, 0x1000, v1
	v_lshlrev_b64 v[82:83], 3, v[82:83]
	v_add_co_ci_u32_e64 v126, null, s3, v126, vcc_lo
	v_add_co_u32 v79, vcc_lo, s2, v80
	v_mov_b32_e32 v87, v2
	v_or_b32_e32 v86, 0x1100, v1
	v_lshlrev_b64 v[84:85], 3, v[84:85]
	v_add_co_ci_u32_e64 v80, null, s3, v81, vcc_lo
	;; [unrolled: 5-line block ×4, first 2 shown]
	v_add_co_u32 v81, vcc_lo, s2, v82
	v_mov_b32_e32 v90, v2
	global_store_dwordx2 v[88:89], v[91:92], off
	v_or_b32_e32 v89, 0x1400, v1
	v_lshlrev_b64 v[129:130], 3, v[130:131]
	v_add_co_ci_u32_e64 v82, null, s3, v83, vcc_lo
	v_add_co_u32 v83, vcc_lo, s2, v84
	v_mov_b32_e32 v92, v2
	v_or_b32_e32 v91, 0x1500, v1
	v_lshlrev_b64 v[75:76], 3, v[75:76]
	v_add_co_ci_u32_e64 v84, null, s3, v85, vcc_lo
	v_add_co_u32 v131, vcc_lo, s2, v132
	v_lshlrev_b64 v[88:89], 3, v[89:90]
	v_add_co_ci_u32_e64 v132, null, s3, v133, vcc_lo
	v_add_co_u32 v85, vcc_lo, s2, v86
	v_mov_b32_e32 v94, v2
	v_or_b32_e32 v93, 0x1700, v1
	v_lshlrev_b64 v[90:91], 3, v[91:92]
	v_add_co_ci_u32_e64 v86, null, s3, v87, vcc_lo
	v_add_co_u32 v129, vcc_lo, s2, v129
	v_add_co_ci_u32_e64 v130, null, s3, v130, vcc_lo
	v_add_co_u32 v75, vcc_lo, s2, v75
	v_lshlrev_b64 v[92:93], 3, v[93:94]
	v_add_co_ci_u32_e64 v76, null, s3, v76, vcc_lo
	v_add_co_u32 v87, vcc_lo, s2, v88
	v_add_co_ci_u32_e64 v88, null, s3, v89, vcc_lo
	v_add_co_u32 v89, vcc_lo, s2, v90
	v_add_co_ci_u32_e64 v90, null, s3, v91, vcc_lo
	v_add_co_u32 v133, vcc_lo, s2, v141
	v_add_co_ci_u32_e64 v134, null, s3, v142, vcc_lo
	v_add_co_u32 v91, vcc_lo, s2, v92
	v_add_co_ci_u32_e64 v92, null, s3, v93, vcc_lo
	v_or_b32_e32 v93, 0x1800, v1
	s_waitcnt vmcnt(53)
	global_store_dwordx2 v[125:126], v[95:96], off
	s_waitcnt vmcnt(52)
	global_store_dwordx2 v[79:80], v[97:98], off
	;; [unrolled: 2-line block ×11, first 2 shown]
	v_or_b32_e32 v75, 0x1900, v1
	v_mov_b32_e32 v76, v2
	v_or_b32_e32 v79, 0x1a00, v1
	v_mov_b32_e32 v80, v2
	v_lshlrev_b64 v[77:78], 3, v[93:94]
	v_or_b32_e32 v81, 0x1b00, v1
	v_lshlrev_b64 v[75:76], 3, v[75:76]
	v_mov_b32_e32 v82, v2
	v_lshlrev_b64 v[79:80], 3, v[79:80]
	v_or_b32_e32 v83, 0x1c00, v1
	v_add_co_u32 v77, vcc_lo, s2, v77
	v_add_co_ci_u32_e64 v78, null, s3, v78, vcc_lo
	v_add_co_u32 v75, vcc_lo, s2, v75
	v_add_co_ci_u32_e64 v76, null, s3, v76, vcc_lo
	;; [unrolled: 2-line block ×3, first 2 shown]
	v_mov_b32_e32 v84, v2
	s_waitcnt vmcnt(42)
	global_store_dwordx2 v[89:90], v[117:118], off
	s_waitcnt vmcnt(41)
	global_store_dwordx2 v[133:134], v[119:120], off
	s_waitcnt vmcnt(40)
	global_store_dwordx2 v[91:92], v[121:122], off
	s_waitcnt vmcnt(39)
	global_store_dwordx2 v[77:78], v[71:72], off
	s_waitcnt vmcnt(38)
	global_store_dwordx2 v[75:76], v[73:74], off
	v_lshlrev_b64 v[71:72], 3, v[81:82]
	s_waitcnt vmcnt(37)
	global_store_dwordx2 v[79:80], v[69:70], off
	v_lshlrev_b64 v[69:70], 3, v[83:84]
	v_or_b32_e32 v73, 0x1d00, v1
	v_mov_b32_e32 v74, v2
	v_or_b32_e32 v75, 0x1e00, v1
	v_add_co_u32 v71, vcc_lo, s2, v71
	v_add_co_ci_u32_e64 v72, null, s3, v72, vcc_lo
	v_add_co_u32 v69, vcc_lo, s2, v69
	v_add_co_ci_u32_e64 v70, null, s3, v70, vcc_lo
	v_mov_b32_e32 v76, v2
	v_or_b32_e32 v77, 0x1f00, v1
	v_mov_b32_e32 v78, v2
	v_lshlrev_b64 v[73:74], 3, v[73:74]
	s_waitcnt vmcnt(36)
	global_store_dwordx2 v[71:72], v[55:56], off
	s_waitcnt vmcnt(35)
	global_store_dwordx2 v[69:70], v[57:58], off
	v_or_b32_e32 v69, 0x2000, v1
	v_mov_b32_e32 v70, v2
	v_lshlrev_b64 v[55:56], 3, v[75:76]
	v_lshlrev_b64 v[57:58], 3, v[77:78]
	v_add_co_u32 v73, vcc_lo, s2, v73
	v_lshlrev_b64 v[69:70], 3, v[69:70]
	v_add_co_ci_u32_e64 v74, null, s3, v74, vcc_lo
	v_add_co_u32 v55, vcc_lo, s2, v55
	v_add_co_ci_u32_e64 v56, null, s3, v56, vcc_lo
	v_add_co_u32 v57, vcc_lo, s2, v57
	;; [unrolled: 2-line block ×3, first 2 shown]
	v_add_co_ci_u32_e64 v70, null, s3, v70, vcc_lo
	v_or_b32_e32 v71, 0x2100, v1
	v_mov_b32_e32 v72, v2
	s_waitcnt vmcnt(34)
	global_store_dwordx2 v[73:74], v[123:124], off
	v_or_b32_e32 v73, 0x2200, v1
	v_mov_b32_e32 v74, v2
	s_waitcnt vmcnt(33)
	global_store_dwordx2 v[55:56], v[135:136], off
	s_waitcnt vmcnt(32)
	global_store_dwordx2 v[57:58], v[137:138], off
	;; [unrolled: 2-line block ×3, first 2 shown]
	v_or_b32_e32 v69, 0x2300, v1
	v_mov_b32_e32 v70, v2
	v_lshlrev_b64 v[55:56], 3, v[71:72]
	v_lshlrev_b64 v[57:58], 3, v[73:74]
	v_or_b32_e32 v71, 0x2400, v1
	v_or_b32_e32 v73, 0x2500, v1
	v_lshlrev_b64 v[69:70], 3, v[69:70]
	v_add_co_u32 v55, vcc_lo, s2, v55
	v_add_co_ci_u32_e64 v56, null, s3, v56, vcc_lo
	v_add_co_u32 v57, vcc_lo, s2, v57
	v_add_co_ci_u32_e64 v58, null, s3, v58, vcc_lo
	;; [unrolled: 2-line block ×3, first 2 shown]
	v_lshlrev_b64 v[71:72], 3, v[71:72]
	s_waitcnt vmcnt(30)
	global_store_dwordx2 v[55:56], v[63:64], off
	s_waitcnt vmcnt(29)
	global_store_dwordx2 v[57:58], v[65:66], off
	;; [unrolled: 2-line block ×3, first 2 shown]
	v_lshlrev_b64 v[55:56], 3, v[73:74]
	v_or_b32_e32 v63, 0x2600, v1
	v_mov_b32_e32 v64, v2
	v_add_co_u32 v57, vcc_lo, s2, v71
	v_add_co_ci_u32_e64 v58, null, s3, v72, vcc_lo
	v_add_co_u32 v55, vcc_lo, s2, v55
	v_add_co_ci_u32_e64 v56, null, s3, v56, vcc_lo
	s_waitcnt vmcnt(26)
	global_store_dwordx2 v[57:58], v[61:62], off
	v_or_b32_e32 v57, 0x2700, v1
	v_mov_b32_e32 v58, v2
	global_store_dwordx2 v[55:56], v[59:60], off
	v_or_b32_e32 v55, 0x2800, v1
	v_mov_b32_e32 v56, v2
	v_lshlrev_b64 v[61:62], 3, v[63:64]
	v_lshlrev_b64 v[57:58], 3, v[57:58]
	v_or_b32_e32 v63, 0x2a00, v1
	v_lshlrev_b64 v[55:56], 3, v[55:56]
	v_add_co_u32 v59, vcc_lo, s2, v61
	v_add_co_ci_u32_e64 v60, null, s3, v62, vcc_lo
	v_add_co_u32 v57, vcc_lo, s2, v57
	v_add_co_ci_u32_e64 v58, null, s3, v58, vcc_lo
	v_add_co_u32 v55, vcc_lo, s2, v55
	v_or_b32_e32 v61, 0x2900, v1
	v_mov_b32_e32 v62, v2
	v_add_co_ci_u32_e64 v56, null, s3, v56, vcc_lo
	s_waitcnt vmcnt(24)
	global_store_dwordx2 v[59:60], v[51:52], off
	s_waitcnt vmcnt(23)
	global_store_dwordx2 v[57:58], v[53:54], off
	v_or_b32_e32 v53, 0x2b00, v1
	v_mov_b32_e32 v54, v2
	v_lshlrev_b64 v[51:52], 3, v[61:62]
	global_store_dwordx2 v[55:56], v[49:50], off
	v_lshlrev_b64 v[49:50], 3, v[63:64]
	v_or_b32_e32 v55, 0x2c00, v1
	v_lshlrev_b64 v[53:54], 3, v[53:54]
	v_mov_b32_e32 v56, v2
	v_add_co_u32 v51, vcc_lo, s2, v51
	v_add_co_ci_u32_e64 v52, null, s3, v52, vcc_lo
	v_add_co_u32 v49, vcc_lo, s2, v49
	v_add_co_ci_u32_e64 v50, null, s3, v50, vcc_lo
	;; [unrolled: 2-line block ×3, first 2 shown]
	v_or_b32_e32 v57, 0x2d00, v1
	v_mov_b32_e32 v58, v2
	s_waitcnt vmcnt(22)
	global_store_dwordx2 v[51:52], v[45:46], off
	s_waitcnt vmcnt(21)
	global_store_dwordx2 v[49:50], v[47:48], off
	v_or_b32_e32 v47, 0x2e00, v1
	v_mov_b32_e32 v48, v2
	v_lshlrev_b64 v[45:46], 3, v[55:56]
	s_waitcnt vmcnt(20)
	global_store_dwordx2 v[53:54], v[43:44], off
	v_lshlrev_b64 v[43:44], 3, v[57:58]
	v_or_b32_e32 v49, 0x2f00, v1
	v_lshlrev_b64 v[47:48], 3, v[47:48]
	v_mov_b32_e32 v50, v2
	v_add_co_u32 v45, vcc_lo, s2, v45
	v_add_co_ci_u32_e64 v46, null, s3, v46, vcc_lo
	v_add_co_u32 v43, vcc_lo, s2, v43
	v_add_co_ci_u32_e64 v44, null, s3, v44, vcc_lo
	;; [unrolled: 2-line block ×3, first 2 shown]
	v_or_b32_e32 v51, 0x3000, v1
	v_mov_b32_e32 v52, v2
	s_waitcnt vmcnt(13)
	global_store_dwordx2 v[45:46], v[41:42], off
	global_store_dwordx2 v[43:44], v[39:40], off
	v_or_b32_e32 v41, 0x3100, v1
	v_mov_b32_e32 v42, v2
	v_lshlrev_b64 v[39:40], 3, v[49:50]
	global_store_dwordx2 v[47:48], v[37:38], off
	v_lshlrev_b64 v[37:38], 3, v[51:52]
	v_or_b32_e32 v43, 0x3200, v1
	v_lshlrev_b64 v[41:42], 3, v[41:42]
	v_mov_b32_e32 v44, v2
	v_add_co_u32 v39, vcc_lo, s2, v39
	v_add_co_ci_u32_e64 v40, null, s3, v40, vcc_lo
	v_add_co_u32 v37, vcc_lo, s2, v37
	v_add_co_ci_u32_e64 v38, null, s3, v38, vcc_lo
	;; [unrolled: 2-line block ×3, first 2 shown]
	v_or_b32_e32 v45, 0x3300, v1
	v_mov_b32_e32 v46, v2
	global_store_dwordx2 v[39:40], v[33:34], off
	s_waitcnt vmcnt(12)
	global_store_dwordx2 v[37:38], v[35:36], off
	v_or_b32_e32 v35, 0x3400, v1
	v_mov_b32_e32 v36, v2
	v_lshlrev_b64 v[33:34], 3, v[43:44]
	global_store_dwordx2 v[41:42], v[31:32], off
	v_lshlrev_b64 v[31:32], 3, v[45:46]
	v_or_b32_e32 v37, 0x3500, v1
	v_lshlrev_b64 v[35:36], 3, v[35:36]
	v_mov_b32_e32 v38, v2
	v_add_co_u32 v33, vcc_lo, s2, v33
	v_add_co_ci_u32_e64 v34, null, s3, v34, vcc_lo
	v_add_co_u32 v31, vcc_lo, s2, v31
	v_add_co_ci_u32_e64 v32, null, s3, v32, vcc_lo
	;; [unrolled: 2-line block ×3, first 2 shown]
	v_or_b32_e32 v39, 0x3600, v1
	v_mov_b32_e32 v40, v2
	global_store_dwordx2 v[33:34], v[25:26], off
	global_store_dwordx2 v[31:32], v[27:28], off
	s_waitcnt vmcnt(11)
	global_store_dwordx2 v[35:36], v[29:30], off
	v_or_b32_e32 v29, 0x3700, v1
	v_mov_b32_e32 v30, v2
	v_lshlrev_b64 v[25:26], 3, v[37:38]
	v_lshlrev_b64 v[27:28], 3, v[39:40]
	v_or_b32_e32 v31, 0x3800, v1
	v_mov_b32_e32 v32, v2
	v_lshlrev_b64 v[29:30], 3, v[29:30]
	v_or_b32_e32 v33, 0x3900, v1
	v_add_co_u32 v25, vcc_lo, s2, v25
	v_add_co_ci_u32_e64 v26, null, s3, v26, vcc_lo
	v_add_co_u32 v27, vcc_lo, s2, v27
	v_add_co_ci_u32_e64 v28, null, s3, v28, vcc_lo
	;; [unrolled: 2-line block ×3, first 2 shown]
	v_mov_b32_e32 v34, v2
	s_waitcnt vmcnt(9)
	global_store_dwordx2 v[25:26], v[21:22], off
	s_waitcnt vmcnt(8)
	global_store_dwordx2 v[27:28], v[23:24], off
	v_or_b32_e32 v23, 0x3a00, v1
	v_mov_b32_e32 v24, v2
	v_lshlrev_b64 v[21:22], 3, v[31:32]
	s_waitcnt vmcnt(7)
	global_store_dwordx2 v[29:30], v[19:20], off
	v_lshlrev_b64 v[19:20], 3, v[33:34]
	v_or_b32_e32 v25, 0x3b00, v1
	v_lshlrev_b64 v[23:24], 3, v[23:24]
	v_mov_b32_e32 v26, v2
	v_add_co_u32 v21, vcc_lo, s2, v21
	v_add_co_ci_u32_e64 v22, null, s3, v22, vcc_lo
	v_add_co_u32 v19, vcc_lo, s2, v19
	v_add_co_ci_u32_e64 v20, null, s3, v20, vcc_lo
	v_add_co_u32 v23, vcc_lo, s2, v23
	v_add_co_ci_u32_e64 v24, null, s3, v24, vcc_lo
	v_or_b32_e32 v27, 0x3c00, v1
	v_mov_b32_e32 v28, v2
	global_store_dwordx2 v[21:22], v[13:14], off
	s_waitcnt vmcnt(6)
	global_store_dwordx2 v[19:20], v[17:18], off
	v_or_b32_e32 v17, 0x3d00, v1
	v_mov_b32_e32 v18, v2
	v_lshlrev_b64 v[13:14], 3, v[25:26]
	v_or_b32_e32 v19, 0x3e00, v1
	v_mov_b32_e32 v20, v2
	s_waitcnt vmcnt(5)
	global_store_dwordx2 v[23:24], v[15:16], off
	v_lshlrev_b64 v[15:16], 3, v[27:28]
	v_or_b32_e32 v1, 0x3f00, v1
	v_lshlrev_b64 v[17:18], 3, v[17:18]
	v_add_co_u32 v13, vcc_lo, s2, v13
	v_lshlrev_b64 v[19:20], 3, v[19:20]
	v_add_co_ci_u32_e64 v14, null, s3, v14, vcc_lo
	v_add_co_u32 v15, vcc_lo, s2, v15
	v_lshlrev_b64 v[0:1], 3, v[1:2]
	v_add_co_ci_u32_e64 v16, null, s3, v16, vcc_lo
	v_add_co_u32 v17, vcc_lo, s2, v17
	v_add_co_ci_u32_e64 v18, null, s3, v18, vcc_lo
	v_add_co_u32 v19, vcc_lo, s2, v19
	;; [unrolled: 2-line block ×3, first 2 shown]
	v_add_co_ci_u32_e64 v1, null, s3, v1, vcc_lo
	s_waitcnt vmcnt(4)
	global_store_dwordx2 v[13:14], v[5:6], off
	s_waitcnt vmcnt(3)
	global_store_dwordx2 v[15:16], v[7:8], off
	;; [unrolled: 2-line block ×5, first 2 shown]
	s_endpgm
	.section	.rodata,"a",@progbits
	.p2align	6, 0x0
	.amdhsa_kernel _Z16warp_load_kernelILj256ELj64ELj64ELN6hipcub17WarpLoadAlgorithmE1EdEvPT3_S3_
		.amdhsa_group_segment_fixed_size 0
		.amdhsa_private_segment_fixed_size 0
		.amdhsa_kernarg_size 16
		.amdhsa_user_sgpr_count 6
		.amdhsa_user_sgpr_private_segment_buffer 1
		.amdhsa_user_sgpr_dispatch_ptr 0
		.amdhsa_user_sgpr_queue_ptr 0
		.amdhsa_user_sgpr_kernarg_segment_ptr 1
		.amdhsa_user_sgpr_dispatch_id 0
		.amdhsa_user_sgpr_flat_scratch_init 0
		.amdhsa_user_sgpr_private_segment_size 0
		.amdhsa_wavefront_size32 1
		.amdhsa_uses_dynamic_stack 0
		.amdhsa_system_sgpr_private_segment_wavefront_offset 0
		.amdhsa_system_sgpr_workgroup_id_x 1
		.amdhsa_system_sgpr_workgroup_id_y 0
		.amdhsa_system_sgpr_workgroup_id_z 0
		.amdhsa_system_sgpr_workgroup_info 0
		.amdhsa_system_vgpr_workitem_id 0
		.amdhsa_next_free_vgpr 143
		.amdhsa_next_free_sgpr 7
		.amdhsa_reserve_vcc 1
		.amdhsa_reserve_flat_scratch 0
		.amdhsa_float_round_mode_32 0
		.amdhsa_float_round_mode_16_64 0
		.amdhsa_float_denorm_mode_32 3
		.amdhsa_float_denorm_mode_16_64 3
		.amdhsa_dx10_clamp 1
		.amdhsa_ieee_mode 1
		.amdhsa_fp16_overflow 0
		.amdhsa_workgroup_processor_mode 1
		.amdhsa_memory_ordered 1
		.amdhsa_forward_progress 1
		.amdhsa_shared_vgpr_count 0
		.amdhsa_exception_fp_ieee_invalid_op 0
		.amdhsa_exception_fp_denorm_src 0
		.amdhsa_exception_fp_ieee_div_zero 0
		.amdhsa_exception_fp_ieee_overflow 0
		.amdhsa_exception_fp_ieee_underflow 0
		.amdhsa_exception_fp_ieee_inexact 0
		.amdhsa_exception_int_div_zero 0
	.end_amdhsa_kernel
	.section	.text._Z16warp_load_kernelILj256ELj64ELj64ELN6hipcub17WarpLoadAlgorithmE1EdEvPT3_S3_,"axG",@progbits,_Z16warp_load_kernelILj256ELj64ELj64ELN6hipcub17WarpLoadAlgorithmE1EdEvPT3_S3_,comdat
.Lfunc_end71:
	.size	_Z16warp_load_kernelILj256ELj64ELj64ELN6hipcub17WarpLoadAlgorithmE1EdEvPT3_S3_, .Lfunc_end71-_Z16warp_load_kernelILj256ELj64ELj64ELN6hipcub17WarpLoadAlgorithmE1EdEvPT3_S3_
                                        ; -- End function
	.set _Z16warp_load_kernelILj256ELj64ELj64ELN6hipcub17WarpLoadAlgorithmE1EdEvPT3_S3_.num_vgpr, 143
	.set _Z16warp_load_kernelILj256ELj64ELj64ELN6hipcub17WarpLoadAlgorithmE1EdEvPT3_S3_.num_agpr, 0
	.set _Z16warp_load_kernelILj256ELj64ELj64ELN6hipcub17WarpLoadAlgorithmE1EdEvPT3_S3_.numbered_sgpr, 7
	.set _Z16warp_load_kernelILj256ELj64ELj64ELN6hipcub17WarpLoadAlgorithmE1EdEvPT3_S3_.num_named_barrier, 0
	.set _Z16warp_load_kernelILj256ELj64ELj64ELN6hipcub17WarpLoadAlgorithmE1EdEvPT3_S3_.private_seg_size, 0
	.set _Z16warp_load_kernelILj256ELj64ELj64ELN6hipcub17WarpLoadAlgorithmE1EdEvPT3_S3_.uses_vcc, 1
	.set _Z16warp_load_kernelILj256ELj64ELj64ELN6hipcub17WarpLoadAlgorithmE1EdEvPT3_S3_.uses_flat_scratch, 0
	.set _Z16warp_load_kernelILj256ELj64ELj64ELN6hipcub17WarpLoadAlgorithmE1EdEvPT3_S3_.has_dyn_sized_stack, 0
	.set _Z16warp_load_kernelILj256ELj64ELj64ELN6hipcub17WarpLoadAlgorithmE1EdEvPT3_S3_.has_recursion, 0
	.set _Z16warp_load_kernelILj256ELj64ELj64ELN6hipcub17WarpLoadAlgorithmE1EdEvPT3_S3_.has_indirect_call, 0
	.section	.AMDGPU.csdata,"",@progbits
; Kernel info:
; codeLenInByte = 4076
; TotalNumSgprs: 9
; NumVgprs: 143
; ScratchSize: 0
; MemoryBound: 1
; FloatMode: 240
; IeeeMode: 1
; LDSByteSize: 0 bytes/workgroup (compile time only)
; SGPRBlocks: 0
; VGPRBlocks: 17
; NumSGPRsForWavesPerEU: 9
; NumVGPRsForWavesPerEU: 143
; Occupancy: 7
; WaveLimiterHint : 1
; COMPUTE_PGM_RSRC2:SCRATCH_EN: 0
; COMPUTE_PGM_RSRC2:USER_SGPR: 6
; COMPUTE_PGM_RSRC2:TRAP_HANDLER: 0
; COMPUTE_PGM_RSRC2:TGID_X_EN: 1
; COMPUTE_PGM_RSRC2:TGID_Y_EN: 0
; COMPUTE_PGM_RSRC2:TGID_Z_EN: 0
; COMPUTE_PGM_RSRC2:TIDIG_COMP_CNT: 0
	.section	.text._Z16warp_load_kernelILj256ELj64ELj64ELN6hipcub17WarpLoadAlgorithmE2EdEvPT3_S3_,"axG",@progbits,_Z16warp_load_kernelILj256ELj64ELj64ELN6hipcub17WarpLoadAlgorithmE2EdEvPT3_S3_,comdat
	.protected	_Z16warp_load_kernelILj256ELj64ELj64ELN6hipcub17WarpLoadAlgorithmE2EdEvPT3_S3_ ; -- Begin function _Z16warp_load_kernelILj256ELj64ELj64ELN6hipcub17WarpLoadAlgorithmE2EdEvPT3_S3_
	.globl	_Z16warp_load_kernelILj256ELj64ELj64ELN6hipcub17WarpLoadAlgorithmE2EdEvPT3_S3_
	.p2align	8
	.type	_Z16warp_load_kernelILj256ELj64ELj64ELN6hipcub17WarpLoadAlgorithmE2EdEvPT3_S3_,@function
_Z16warp_load_kernelILj256ELj64ELj64ELN6hipcub17WarpLoadAlgorithmE2EdEvPT3_S3_: ; @_Z16warp_load_kernelILj256ELj64ELj64ELN6hipcub17WarpLoadAlgorithmE2EdEvPT3_S3_
; %bb.0:
	s_load_dwordx4 s[0:3], s[4:5], 0x0
	v_lshlrev_b32_e32 v1, 6, v0
	s_lshl_b32 s4, s6, 14
	v_mov_b32_e32 v109, 0
	v_mbcnt_lo_u32_b32 v3, -1, 0
	v_and_or_b32 v108, 0x3000, v1, s4
	v_mov_b32_e32 v131, v109
	v_lshlrev_b32_e32 v3, 9, v3
	v_mov_b32_e32 v133, v109
	v_lshlrev_b64 v[1:2], 3, v[108:109]
	v_or_b32_e32 v108, s4, v0
	v_mov_b32_e32 v135, v109
	v_mov_b32_e32 v140, v109
	;; [unrolled: 1-line block ×3, first 2 shown]
	v_or_b32_e32 v0, 0x100, v108
	v_or_b32_e32 v130, 0x200, v108
	;; [unrolled: 1-line block ×3, first 2 shown]
	s_waitcnt lgkmcnt(0)
	v_add_co_u32 v1, vcc_lo, s0, v1
	v_add_co_ci_u32_e64 v2, null, s1, v2, vcc_lo
	v_lshlrev_b64 v[130:131], 3, v[130:131]
	v_add_co_u32 v12, vcc_lo, v1, v3
	v_add_co_ci_u32_e64 v13, null, 0, v2, vcc_lo
	v_mov_b32_e32 v1, v109
	v_lshlrev_b64 v[2:3], 3, v[108:109]
	v_or_b32_e32 v134, 0x400, v108
	s_clause 0x13
	global_load_dwordx4 v[110:113], v[12:13], off
	global_load_dwordx4 v[114:117], v[12:13], off offset:16
	global_load_dwordx4 v[118:121], v[12:13], off offset:32
	;; [unrolled: 1-line block ×19, first 2 shown]
	v_lshlrev_b64 v[0:1], 3, v[0:1]
	v_lshlrev_b64 v[132:133], 3, v[132:133]
	v_add_co_u32 v136, vcc_lo, s2, v2
	v_add_co_ci_u32_e64 v137, null, s3, v3, vcc_lo
	v_add_co_u32 v138, vcc_lo, s2, v0
	v_add_co_ci_u32_e64 v139, null, s3, v1, vcc_lo
	s_clause 0xb
	global_load_dwordx4 v[28:31], v[12:13], off offset:368
	global_load_dwordx4 v[36:39], v[12:13], off offset:352
	;; [unrolled: 1-line block ×12, first 2 shown]
	v_add_co_u32 v130, vcc_lo, s2, v130
	v_add_co_ci_u32_e64 v131, null, s3, v131, vcc_lo
	v_add_co_u32 v132, vcc_lo, s2, v132
	v_add_co_ci_u32_e64 v133, null, s3, v133, vcc_lo
	v_or_b32_e32 v141, 0x2700, v108
	s_waitcnt vmcnt(31)
	global_store_dwordx2 v[136:137], v[110:111], off
	v_mov_b32_e32 v111, v109
	v_or_b32_e32 v110, 0x500, v108
	global_store_dwordx2 v[138:139], v[112:113], off
	v_mov_b32_e32 v113, v109
	v_or_b32_e32 v112, 0x600, v108
	s_waitcnt vmcnt(30)
	global_store_dwordx2 v[130:131], v[114:115], off
	v_lshlrev_b64 v[130:131], 3, v[134:135]
	v_lshlrev_b64 v[110:111], 3, v[110:111]
	v_mov_b32_e32 v136, v109
	v_lshlrev_b64 v[112:113], 3, v[112:113]
	v_or_b32_e32 v135, 0x700, v108
	v_mov_b32_e32 v138, v109
	v_add_co_u32 v130, vcc_lo, s2, v130
	v_add_co_ci_u32_e64 v131, null, s3, v131, vcc_lo
	v_add_co_u32 v110, vcc_lo, s2, v110
	v_add_co_ci_u32_e64 v111, null, s3, v111, vcc_lo
	;; [unrolled: 2-line block ×3, first 2 shown]
	v_or_b32_e32 v137, 0x800, v108
	v_mov_b32_e32 v114, v109
	s_waitcnt vmcnt(29)
	global_store_dwordx2 v[130:131], v[118:119], off
	v_lshlrev_b64 v[130:131], 3, v[135:136]
	s_waitcnt vmcnt(28)
	global_store_dwordx2 v[112:113], v[122:123], off
	v_or_b32_e32 v113, 0x900, v108
	global_store_dwordx2 v[110:111], v[120:121], off
	v_lshlrev_b64 v[121:122], 3, v[137:138]
	global_store_dwordx2 v[132:133], v[116:117], off
	v_add_co_u32 v130, vcc_lo, s2, v130
	v_lshlrev_b64 v[113:114], 3, v[113:114]
	v_add_co_ci_u32_e64 v131, null, s3, v131, vcc_lo
	v_add_co_u32 v121, vcc_lo, s2, v121
	v_mov_b32_e32 v116, v109
	v_or_b32_e32 v115, 0xa00, v108
	v_add_co_ci_u32_e64 v122, null, s3, v122, vcc_lo
	v_add_co_u32 v113, vcc_lo, s2, v113
	v_mov_b32_e32 v132, v109
	global_store_dwordx2 v[130:131], v[124:125], off
	v_add_co_ci_u32_e64 v114, null, s3, v114, vcc_lo
	v_or_b32_e32 v131, 0xb00, v108
	s_waitcnt vmcnt(27)
	global_store_dwordx2 v[121:122], v[126:127], off
	v_lshlrev_b64 v[126:127], 3, v[115:116]
	v_mov_b32_e32 v117, v109
	global_store_dwordx2 v[113:114], v[128:129], off
	v_or_b32_e32 v116, 0xc00, v108
	v_lshlrev_b64 v[128:129], 3, v[131:132]
	v_mov_b32_e32 v119, v109
	v_or_b32_e32 v118, 0xd00, v108
	v_add_co_u32 v126, vcc_lo, s2, v126
	v_lshlrev_b64 v[116:117], 3, v[116:117]
	v_add_co_ci_u32_e64 v127, null, s3, v127, vcc_lo
	v_add_co_u32 v128, vcc_lo, s2, v128
	v_lshlrev_b64 v[118:119], 3, v[118:119]
	v_add_co_ci_u32_e64 v129, null, s3, v129, vcc_lo
	v_add_co_u32 v116, vcc_lo, s2, v116
	v_mov_b32_e32 v111, v109
	s_waitcnt vmcnt(26)
	global_store_dwordx2 v[128:129], v[106:107], off
	v_or_b32_e32 v110, 0xe00, v108
	v_add_co_ci_u32_e64 v117, null, s3, v117, vcc_lo
	v_add_co_u32 v128, vcc_lo, s2, v118
	v_mov_b32_e32 v120, v109
	v_add_co_ci_u32_e64 v129, null, s3, v119, vcc_lo
	v_or_b32_e32 v119, 0xf00, v108
	v_lshlrev_b64 v[110:111], 3, v[110:111]
	s_waitcnt vmcnt(25)
	global_store_dwordx2 v[116:117], v[96:97], off
	v_mov_b32_e32 v133, v109
	v_or_b32_e32 v132, 0x1000, v108
	v_lshlrev_b64 v[116:117], 3, v[119:120]
	v_mov_b32_e32 v112, v109
	v_add_co_u32 v119, vcc_lo, s2, v110
	v_add_co_ci_u32_e64 v120, null, s3, v111, vcc_lo
	v_add_co_u32 v116, vcc_lo, s2, v116
	global_store_dwordx2 v[128:129], v[98:99], off
	v_or_b32_e32 v111, 0x1100, v108
	v_lshlrev_b64 v[128:129], 3, v[132:133]
	v_add_co_ci_u32_e64 v117, null, s3, v117, vcc_lo
	v_mov_b32_e32 v123, v109
	v_or_b32_e32 v122, 0x1200, v108
	v_lshlrev_b64 v[110:111], 3, v[111:112]
	v_mov_b32_e32 v125, v109
	s_waitcnt vmcnt(24)
	global_store_dwordx2 v[116:117], v[66:67], off
	v_add_co_u32 v116, vcc_lo, s2, v128
	v_or_b32_e32 v124, 0x1300, v108
	v_mov_b32_e32 v130, v109
	v_add_co_ci_u32_e64 v117, null, s3, v129, vcc_lo
	v_or_b32_e32 v129, 0x1400, v108
	v_lshlrev_b64 v[122:123], 3, v[122:123]
	v_mov_b32_e32 v121, v109
	global_store_dwordx2 v[119:120], v[64:65], off
	v_or_b32_e32 v120, 0x1500, v108
	v_add_co_u32 v110, vcc_lo, s2, v110
	v_lshlrev_b64 v[124:125], 3, v[124:125]
	v_mov_b32_e32 v113, v109
	v_or_b32_e32 v112, 0x1600, v108
	v_add_co_ci_u32_e64 v111, null, s3, v111, vcc_lo
	v_lshlrev_b64 v[128:129], 3, v[129:130]
	v_mov_b32_e32 v115, v109
	v_or_b32_e32 v114, 0x1700, v108
	v_lshlrev_b64 v[119:120], 3, v[120:121]
	v_add_co_u32 v121, vcc_lo, s2, v122
	v_mov_b32_e32 v134, v109
	v_mov_b32_e32 v118, v109
	s_waitcnt vmcnt(23)
	global_store_dwordx2 v[116:117], v[100:101], off
	v_or_b32_e32 v133, 0x1800, v108
	v_or_b32_e32 v117, 0x1c00, v108
	v_lshlrev_b64 v[112:113], 3, v[112:113]
	v_add_co_ci_u32_e64 v122, null, s3, v123, vcc_lo
	v_add_co_u32 v123, vcc_lo, s2, v124
	global_store_dwordx2 v[126:127], v[104:105], off
	v_mov_b32_e32 v104, v109
	global_store_dwordx2 v[110:111], v[102:103], off
	v_or_b32_e32 v103, 0x1900, v108
	v_lshlrev_b64 v[114:115], 3, v[114:115]
	v_add_co_ci_u32_e64 v124, null, s3, v125, vcc_lo
	v_add_co_u32 v128, vcc_lo, s2, v128
	v_mov_b32_e32 v106, v109
	v_or_b32_e32 v105, 0x1a00, v108
	v_lshlrev_b64 v[133:134], 3, v[133:134]
	v_lshlrev_b64 v[116:117], 3, v[117:118]
	v_add_co_ci_u32_e64 v129, null, s3, v129, vcc_lo
	v_add_co_u32 v118, vcc_lo, s2, v119
	v_mov_b32_e32 v127, v109
	v_mov_b32_e32 v132, v109
	v_or_b32_e32 v126, 0x1b00, v108
	v_or_b32_e32 v131, 0x2300, v108
	v_lshlrev_b64 v[102:103], 3, v[103:104]
	v_add_co_ci_u32_e64 v119, null, s3, v120, vcc_lo
	v_add_co_u32 v112, vcc_lo, s2, v112
	v_lshlrev_b64 v[104:105], 3, v[105:106]
	v_add_co_ci_u32_e64 v113, null, s3, v113, vcc_lo
	v_add_co_u32 v114, vcc_lo, s2, v114
	v_mov_b32_e32 v97, v109
	v_or_b32_e32 v96, 0x1d00, v108
	v_lshlrev_b64 v[106:107], 3, v[126:127]
	v_lshlrev_b64 v[130:131], 3, v[131:132]
	v_add_co_ci_u32_e64 v115, null, s3, v115, vcc_lo
	v_add_co_u32 v132, vcc_lo, s2, v133
	v_mov_b32_e32 v99, v109
	v_or_b32_e32 v98, 0x1e00, v108
	v_add_co_ci_u32_e64 v133, null, s3, v134, vcc_lo
	v_add_co_u32 v102, vcc_lo, s2, v102
	v_or_b32_e32 v135, 0x1f00, v108
	v_lshlrev_b64 v[96:97], 3, v[96:97]
	v_add_co_ci_u32_e64 v103, null, s3, v103, vcc_lo
	v_add_co_u32 v104, vcc_lo, s2, v104
	v_or_b32_e32 v137, 0x2000, v108
	v_lshlrev_b64 v[98:99], 3, v[98:99]
	v_add_co_ci_u32_e64 v105, null, s3, v105, vcc_lo
	v_add_co_u32 v106, vcc_lo, s2, v106
	v_mov_b32_e32 v65, v109
	v_or_b32_e32 v64, 0x2100, v108
	v_lshlrev_b64 v[126:127], 3, v[135:136]
	v_add_co_ci_u32_e64 v107, null, s3, v107, vcc_lo
	v_add_co_u32 v116, vcc_lo, s2, v116
	v_mov_b32_e32 v67, v109
	v_or_b32_e32 v66, 0x2200, v108
	v_lshlrev_b64 v[135:136], 3, v[137:138]
	v_add_co_ci_u32_e64 v117, null, s3, v117, vcc_lo
	v_add_co_u32 v96, vcc_lo, s2, v96
	v_lshlrev_b64 v[64:65], 3, v[64:65]
	v_add_co_ci_u32_e64 v97, null, s3, v97, vcc_lo
	v_add_co_u32 v98, vcc_lo, s2, v98
	v_or_b32_e32 v139, 0x2400, v108
	v_lshlrev_b64 v[66:67], 3, v[66:67]
	v_add_co_ci_u32_e64 v99, null, s3, v99, vcc_lo
	v_add_co_u32 v125, vcc_lo, s2, v126
	v_add_co_ci_u32_e64 v126, null, s3, v127, vcc_lo
	v_add_co_u32 v134, vcc_lo, s2, v135
	v_lshlrev_b64 v[137:138], 3, v[139:140]
	v_add_co_ci_u32_e64 v135, null, s3, v136, vcc_lo
	v_add_co_u32 v64, vcc_lo, s2, v64
	v_mov_b32_e32 v101, v109
	v_or_b32_e32 v100, 0x2500, v108
	v_add_co_ci_u32_e64 v65, null, s3, v65, vcc_lo
	v_add_co_u32 v66, vcc_lo, s2, v66
	v_mov_b32_e32 v111, v109
	v_or_b32_e32 v110, 0x2600, v108
	v_add_co_ci_u32_e64 v67, null, s3, v67, vcc_lo
	v_add_co_u32 v130, vcc_lo, s2, v130
	v_lshlrev_b64 v[100:101], 3, v[100:101]
	v_add_co_ci_u32_e64 v131, null, s3, v131, vcc_lo
	v_add_co_u32 v136, vcc_lo, s2, v137
	v_add_co_ci_u32_e64 v137, null, s3, v138, vcc_lo
	s_waitcnt vmcnt(22)
	global_store_dwordx2 v[121:122], v[52:53], off
	global_store_dwordx2 v[123:124], v[54:55], off
	s_waitcnt vmcnt(21)
	global_store_dwordx2 v[128:129], v[60:61], off
	global_store_dwordx2 v[118:119], v[62:63], off
	;; [unrolled: 3-line block ×9, first 2 shown]
	s_waitcnt vmcnt(13)
	global_store_dwordx2 v[136:137], v[68:69], off
	v_lshlrev_b64 v[52:53], 3, v[110:111]
	v_lshlrev_b64 v[54:55], 3, v[141:142]
	v_or_b32_e32 v56, 0x2800, v108
	v_mov_b32_e32 v57, v109
	v_add_co_u32 v100, vcc_lo, s2, v100
	v_add_co_ci_u32_e64 v101, null, s3, v101, vcc_lo
	v_add_co_u32 v52, vcc_lo, s2, v52
	v_add_co_ci_u32_e64 v53, null, s3, v53, vcc_lo
	v_lshlrev_b64 v[56:57], 3, v[56:57]
	v_add_co_u32 v54, vcc_lo, s2, v54
	v_or_b32_e32 v58, 0x2900, v108
	v_mov_b32_e32 v59, v109
	v_add_co_ci_u32_e64 v55, null, s3, v55, vcc_lo
	v_or_b32_e32 v60, 0x2a00, v108
	v_mov_b32_e32 v61, v109
	global_store_dwordx2 v[100:101], v[70:71], off
	v_add_co_u32 v56, vcc_lo, s2, v56
	s_waitcnt vmcnt(12)
	global_store_dwordx2 v[52:53], v[40:41], off
	global_store_dwordx2 v[54:55], v[42:43], off
	v_lshlrev_b64 v[40:41], 3, v[58:59]
	v_add_co_ci_u32_e64 v57, null, s3, v57, vcc_lo
	v_lshlrev_b64 v[42:43], 3, v[60:61]
	v_or_b32_e32 v52, 0x2c00, v108
	v_mov_b32_e32 v53, v109
	v_add_co_u32 v40, vcc_lo, s2, v40
	s_waitcnt vmcnt(8)
	global_store_dwordx2 v[56:57], v[48:49], off
	v_or_b32_e32 v48, 0x2b00, v108
	v_mov_b32_e32 v49, v109
	v_add_co_ci_u32_e64 v41, null, s3, v41, vcc_lo
	v_add_co_u32 v42, vcc_lo, s2, v42
	v_add_co_ci_u32_e64 v43, null, s3, v43, vcc_lo
	v_lshlrev_b64 v[48:49], 3, v[48:49]
	v_or_b32_e32 v54, 0x2d00, v108
	v_mov_b32_e32 v55, v109
	global_store_dwordx2 v[40:41], v[50:51], off
	global_store_dwordx2 v[42:43], v[44:45], off
	v_or_b32_e32 v44, 0x2e00, v108
	v_mov_b32_e32 v45, v109
	v_lshlrev_b64 v[40:41], 3, v[52:53]
	v_lshlrev_b64 v[42:43], 3, v[54:55]
	v_add_co_u32 v48, vcc_lo, s2, v48
	v_lshlrev_b64 v[44:45], 3, v[44:45]
	v_add_co_ci_u32_e64 v49, null, s3, v49, vcc_lo
	v_add_co_u32 v40, vcc_lo, s2, v40
	v_add_co_ci_u32_e64 v41, null, s3, v41, vcc_lo
	v_add_co_u32 v42, vcc_lo, s2, v42
	global_store_dwordx2 v[48:49], v[46:47], off
	v_add_co_ci_u32_e64 v43, null, s3, v43, vcc_lo
	v_add_co_u32 v44, vcc_lo, s2, v44
	v_or_b32_e32 v46, 0x2f00, v108
	v_mov_b32_e32 v47, v109
	v_add_co_ci_u32_e64 v45, null, s3, v45, vcc_lo
	v_or_b32_e32 v48, 0x3000, v108
	v_mov_b32_e32 v49, v109
	global_store_dwordx2 v[40:41], v[36:37], off
	global_store_dwordx2 v[42:43], v[38:39], off
	v_lshlrev_b64 v[36:37], 3, v[46:47]
	global_store_dwordx2 v[44:45], v[28:29], off
	v_or_b32_e32 v38, 0x3100, v108
	v_lshlrev_b64 v[28:29], 3, v[48:49]
	v_mov_b32_e32 v39, v109
	v_or_b32_e32 v40, 0x3200, v108
	v_add_co_u32 v36, vcc_lo, s2, v36
	v_add_co_ci_u32_e64 v37, null, s3, v37, vcc_lo
	v_add_co_u32 v28, vcc_lo, s2, v28
	v_add_co_ci_u32_e64 v29, null, s3, v29, vcc_lo
	v_mov_b32_e32 v41, v109
	v_lshlrev_b64 v[38:39], 3, v[38:39]
	v_or_b32_e32 v42, 0x3300, v108
	v_mov_b32_e32 v43, v109
	global_store_dwordx2 v[36:37], v[30:31], off
	s_waitcnt vmcnt(4)
	global_store_dwordx2 v[28:29], v[32:33], off
	v_or_b32_e32 v32, 0x3400, v108
	v_mov_b32_e32 v33, v109
	v_lshlrev_b64 v[28:29], 3, v[40:41]
	v_lshlrev_b64 v[30:31], 3, v[42:43]
	v_add_co_u32 v38, vcc_lo, s2, v38
	v_lshlrev_b64 v[32:33], 3, v[32:33]
	v_add_co_ci_u32_e64 v39, null, s3, v39, vcc_lo
	v_add_co_u32 v28, vcc_lo, s2, v28
	v_add_co_ci_u32_e64 v29, null, s3, v29, vcc_lo
	v_add_co_u32 v30, vcc_lo, s2, v30
	global_store_dwordx2 v[38:39], v[34:35], off
	v_add_co_ci_u32_e64 v31, null, s3, v31, vcc_lo
	v_add_co_u32 v32, vcc_lo, s2, v32
	v_or_b32_e32 v34, 0x3500, v108
	v_mov_b32_e32 v35, v109
	v_add_co_ci_u32_e64 v33, null, s3, v33, vcc_lo
	v_or_b32_e32 v36, 0x3600, v108
	v_mov_b32_e32 v37, v109
	global_store_dwordx2 v[28:29], v[24:25], off
	global_store_dwordx2 v[30:31], v[26:27], off
	v_or_b32_e32 v26, 0x3700, v108
	v_mov_b32_e32 v27, v109
	v_lshlrev_b64 v[24:25], 3, v[34:35]
	global_store_dwordx2 v[32:33], v[20:21], off
	v_lshlrev_b64 v[20:21], 3, v[36:37]
	v_or_b32_e32 v28, 0x3800, v108
	v_lshlrev_b64 v[26:27], 3, v[26:27]
	v_mov_b32_e32 v29, v109
	v_add_co_u32 v24, vcc_lo, s2, v24
	v_add_co_ci_u32_e64 v25, null, s3, v25, vcc_lo
	v_add_co_u32 v20, vcc_lo, s2, v20
	v_add_co_ci_u32_e64 v21, null, s3, v21, vcc_lo
	;; [unrolled: 2-line block ×3, first 2 shown]
	v_or_b32_e32 v30, 0x3900, v108
	v_mov_b32_e32 v31, v109
	global_store_dwordx2 v[24:25], v[22:23], off
	global_store_dwordx2 v[20:21], v[16:17], off
	v_or_b32_e32 v20, 0x3a00, v108
	v_mov_b32_e32 v21, v109
	v_lshlrev_b64 v[16:17], 3, v[28:29]
	global_store_dwordx2 v[26:27], v[18:19], off
	v_lshlrev_b64 v[18:19], 3, v[30:31]
	v_or_b32_e32 v22, 0x3b00, v108
	v_lshlrev_b64 v[20:21], 3, v[20:21]
	v_mov_b32_e32 v23, v109
	v_add_co_u32 v16, vcc_lo, s2, v16
	v_add_co_ci_u32_e64 v17, null, s3, v17, vcc_lo
	v_add_co_u32 v18, vcc_lo, s2, v18
	v_add_co_ci_u32_e64 v19, null, s3, v19, vcc_lo
	;; [unrolled: 2-line block ×3, first 2 shown]
	v_or_b32_e32 v24, 0x3c00, v108
	v_mov_b32_e32 v25, v109
	s_waitcnt vmcnt(0)
	global_store_dwordx2 v[16:17], v[12:13], off
	global_store_dwordx2 v[18:19], v[14:15], off
	v_or_b32_e32 v14, 0x3d00, v108
	v_mov_b32_e32 v15, v109
	v_lshlrev_b64 v[12:13], 3, v[22:23]
	v_or_b32_e32 v16, 0x3e00, v108
	v_mov_b32_e32 v17, v109
	global_store_dwordx2 v[20:21], v[8:9], off
	v_lshlrev_b64 v[8:9], 3, v[24:25]
	v_or_b32_e32 v108, 0x3f00, v108
	v_lshlrev_b64 v[14:15], 3, v[14:15]
	v_add_co_u32 v12, vcc_lo, s2, v12
	v_lshlrev_b64 v[16:17], 3, v[16:17]
	v_add_co_ci_u32_e64 v13, null, s3, v13, vcc_lo
	v_add_co_u32 v8, vcc_lo, s2, v8
	v_lshlrev_b64 v[18:19], 3, v[108:109]
	v_add_co_ci_u32_e64 v9, null, s3, v9, vcc_lo
	v_add_co_u32 v14, vcc_lo, s2, v14
	v_add_co_ci_u32_e64 v15, null, s3, v15, vcc_lo
	v_add_co_u32 v16, vcc_lo, s2, v16
	;; [unrolled: 2-line block ×3, first 2 shown]
	v_add_co_ci_u32_e64 v19, null, s3, v19, vcc_lo
	global_store_dwordx2 v[12:13], v[10:11], off
	global_store_dwordx2 v[8:9], v[4:5], off
	;; [unrolled: 1-line block ×5, first 2 shown]
	s_endpgm
	.section	.rodata,"a",@progbits
	.p2align	6, 0x0
	.amdhsa_kernel _Z16warp_load_kernelILj256ELj64ELj64ELN6hipcub17WarpLoadAlgorithmE2EdEvPT3_S3_
		.amdhsa_group_segment_fixed_size 0
		.amdhsa_private_segment_fixed_size 0
		.amdhsa_kernarg_size 16
		.amdhsa_user_sgpr_count 6
		.amdhsa_user_sgpr_private_segment_buffer 1
		.amdhsa_user_sgpr_dispatch_ptr 0
		.amdhsa_user_sgpr_queue_ptr 0
		.amdhsa_user_sgpr_kernarg_segment_ptr 1
		.amdhsa_user_sgpr_dispatch_id 0
		.amdhsa_user_sgpr_flat_scratch_init 0
		.amdhsa_user_sgpr_private_segment_size 0
		.amdhsa_wavefront_size32 1
		.amdhsa_uses_dynamic_stack 0
		.amdhsa_system_sgpr_private_segment_wavefront_offset 0
		.amdhsa_system_sgpr_workgroup_id_x 1
		.amdhsa_system_sgpr_workgroup_id_y 0
		.amdhsa_system_sgpr_workgroup_id_z 0
		.amdhsa_system_sgpr_workgroup_info 0
		.amdhsa_system_vgpr_workitem_id 0
		.amdhsa_next_free_vgpr 143
		.amdhsa_next_free_sgpr 7
		.amdhsa_reserve_vcc 1
		.amdhsa_reserve_flat_scratch 0
		.amdhsa_float_round_mode_32 0
		.amdhsa_float_round_mode_16_64 0
		.amdhsa_float_denorm_mode_32 3
		.amdhsa_float_denorm_mode_16_64 3
		.amdhsa_dx10_clamp 1
		.amdhsa_ieee_mode 1
		.amdhsa_fp16_overflow 0
		.amdhsa_workgroup_processor_mode 1
		.amdhsa_memory_ordered 1
		.amdhsa_forward_progress 1
		.amdhsa_shared_vgpr_count 0
		.amdhsa_exception_fp_ieee_invalid_op 0
		.amdhsa_exception_fp_denorm_src 0
		.amdhsa_exception_fp_ieee_div_zero 0
		.amdhsa_exception_fp_ieee_overflow 0
		.amdhsa_exception_fp_ieee_underflow 0
		.amdhsa_exception_fp_ieee_inexact 0
		.amdhsa_exception_int_div_zero 0
	.end_amdhsa_kernel
	.section	.text._Z16warp_load_kernelILj256ELj64ELj64ELN6hipcub17WarpLoadAlgorithmE2EdEvPT3_S3_,"axG",@progbits,_Z16warp_load_kernelILj256ELj64ELj64ELN6hipcub17WarpLoadAlgorithmE2EdEvPT3_S3_,comdat
.Lfunc_end72:
	.size	_Z16warp_load_kernelILj256ELj64ELj64ELN6hipcub17WarpLoadAlgorithmE2EdEvPT3_S3_, .Lfunc_end72-_Z16warp_load_kernelILj256ELj64ELj64ELN6hipcub17WarpLoadAlgorithmE2EdEvPT3_S3_
                                        ; -- End function
	.set _Z16warp_load_kernelILj256ELj64ELj64ELN6hipcub17WarpLoadAlgorithmE2EdEvPT3_S3_.num_vgpr, 143
	.set _Z16warp_load_kernelILj256ELj64ELj64ELN6hipcub17WarpLoadAlgorithmE2EdEvPT3_S3_.num_agpr, 0
	.set _Z16warp_load_kernelILj256ELj64ELj64ELN6hipcub17WarpLoadAlgorithmE2EdEvPT3_S3_.numbered_sgpr, 7
	.set _Z16warp_load_kernelILj256ELj64ELj64ELN6hipcub17WarpLoadAlgorithmE2EdEvPT3_S3_.num_named_barrier, 0
	.set _Z16warp_load_kernelILj256ELj64ELj64ELN6hipcub17WarpLoadAlgorithmE2EdEvPT3_S3_.private_seg_size, 0
	.set _Z16warp_load_kernelILj256ELj64ELj64ELN6hipcub17WarpLoadAlgorithmE2EdEvPT3_S3_.uses_vcc, 1
	.set _Z16warp_load_kernelILj256ELj64ELj64ELN6hipcub17WarpLoadAlgorithmE2EdEvPT3_S3_.uses_flat_scratch, 0
	.set _Z16warp_load_kernelILj256ELj64ELj64ELN6hipcub17WarpLoadAlgorithmE2EdEvPT3_S3_.has_dyn_sized_stack, 0
	.set _Z16warp_load_kernelILj256ELj64ELj64ELN6hipcub17WarpLoadAlgorithmE2EdEvPT3_S3_.has_recursion, 0
	.set _Z16warp_load_kernelILj256ELj64ELj64ELN6hipcub17WarpLoadAlgorithmE2EdEvPT3_S3_.has_indirect_call, 0
	.section	.AMDGPU.csdata,"",@progbits
; Kernel info:
; codeLenInByte = 3244
; TotalNumSgprs: 9
; NumVgprs: 143
; ScratchSize: 0
; MemoryBound: 1
; FloatMode: 240
; IeeeMode: 1
; LDSByteSize: 0 bytes/workgroup (compile time only)
; SGPRBlocks: 0
; VGPRBlocks: 17
; NumSGPRsForWavesPerEU: 9
; NumVGPRsForWavesPerEU: 143
; Occupancy: 7
; WaveLimiterHint : 1
; COMPUTE_PGM_RSRC2:SCRATCH_EN: 0
; COMPUTE_PGM_RSRC2:USER_SGPR: 6
; COMPUTE_PGM_RSRC2:TRAP_HANDLER: 0
; COMPUTE_PGM_RSRC2:TGID_X_EN: 1
; COMPUTE_PGM_RSRC2:TGID_Y_EN: 0
; COMPUTE_PGM_RSRC2:TGID_Z_EN: 0
; COMPUTE_PGM_RSRC2:TIDIG_COMP_CNT: 0
	.section	.AMDGPU.gpr_maximums,"",@progbits
	.set amdgpu.max_num_vgpr, 0
	.set amdgpu.max_num_agpr, 0
	.set amdgpu.max_num_sgpr, 0
	.section	.AMDGPU.csdata,"",@progbits
	.type	__hip_cuid_23cd8827ebc371cb,@object ; @__hip_cuid_23cd8827ebc371cb
	.section	.bss,"aw",@nobits
	.globl	__hip_cuid_23cd8827ebc371cb
__hip_cuid_23cd8827ebc371cb:
	.byte	0                               ; 0x0
	.size	__hip_cuid_23cd8827ebc371cb, 1

	.ident	"AMD clang version 22.0.0git (https://github.com/RadeonOpenCompute/llvm-project roc-7.2.4 26084 f58b06dce1f9c15707c5f808fd002e18c2accf7e)"
	.section	".note.GNU-stack","",@progbits
	.addrsig
	.addrsig_sym __hip_cuid_23cd8827ebc371cb
	.amdgpu_metadata
---
amdhsa.kernels:
  - .args:
      - .address_space:  global
        .offset:         0
        .size:           8
        .value_kind:     global_buffer
      - .address_space:  global
        .offset:         8
        .size:           8
        .value_kind:     global_buffer
    .group_segment_fixed_size: 0
    .kernarg_segment_align: 8
    .kernarg_segment_size: 16
    .language:       OpenCL C
    .language_version:
      - 2
      - 0
    .max_flat_workgroup_size: 256
    .name:           _Z16warp_load_kernelILj256ELj4ELj32ELN6hipcub17WarpLoadAlgorithmE0EiEvPT3_S3_
    .private_segment_fixed_size: 0
    .sgpr_count:     9
    .sgpr_spill_count: 0
    .symbol:         _Z16warp_load_kernelILj256ELj4ELj32ELN6hipcub17WarpLoadAlgorithmE0EiEvPT3_S3_.kd
    .uniform_work_group_size: 1
    .uses_dynamic_stack: false
    .vgpr_count:     13
    .vgpr_spill_count: 0
    .wavefront_size: 32
    .workgroup_processor_mode: 1
  - .args:
      - .address_space:  global
        .offset:         0
        .size:           8
        .value_kind:     global_buffer
      - .address_space:  global
        .offset:         8
        .size:           8
        .value_kind:     global_buffer
    .group_segment_fixed_size: 0
    .kernarg_segment_align: 8
    .kernarg_segment_size: 16
    .language:       OpenCL C
    .language_version:
      - 2
      - 0
    .max_flat_workgroup_size: 256
    .name:           _Z16warp_load_kernelILj256ELj4ELj32ELN6hipcub17WarpLoadAlgorithmE1EiEvPT3_S3_
    .private_segment_fixed_size: 0
    .sgpr_count:     9
    .sgpr_spill_count: 0
    .symbol:         _Z16warp_load_kernelILj256ELj4ELj32ELN6hipcub17WarpLoadAlgorithmE1EiEvPT3_S3_.kd
    .uniform_work_group_size: 1
    .uses_dynamic_stack: false
    .vgpr_count:     13
    .vgpr_spill_count: 0
    .wavefront_size: 32
    .workgroup_processor_mode: 1
  - .args:
      - .address_space:  global
        .offset:         0
        .size:           8
        .value_kind:     global_buffer
      - .address_space:  global
        .offset:         8
        .size:           8
        .value_kind:     global_buffer
    .group_segment_fixed_size: 0
    .kernarg_segment_align: 8
    .kernarg_segment_size: 16
    .language:       OpenCL C
    .language_version:
      - 2
      - 0
    .max_flat_workgroup_size: 256
    .name:           _Z16warp_load_kernelILj256ELj4ELj32ELN6hipcub17WarpLoadAlgorithmE2EiEvPT3_S3_
    .private_segment_fixed_size: 0
    .sgpr_count:     9
    .sgpr_spill_count: 0
    .symbol:         _Z16warp_load_kernelILj256ELj4ELj32ELN6hipcub17WarpLoadAlgorithmE2EiEvPT3_S3_.kd
    .uniform_work_group_size: 1
    .uses_dynamic_stack: false
    .vgpr_count:     13
    .vgpr_spill_count: 0
    .wavefront_size: 32
    .workgroup_processor_mode: 1
  - .args:
      - .address_space:  global
        .offset:         0
        .size:           8
        .value_kind:     global_buffer
      - .address_space:  global
        .offset:         8
        .size:           8
        .value_kind:     global_buffer
    .group_segment_fixed_size: 4096
    .kernarg_segment_align: 8
    .kernarg_segment_size: 16
    .language:       OpenCL C
    .language_version:
      - 2
      - 0
    .max_flat_workgroup_size: 256
    .name:           _Z16warp_load_kernelILj256ELj4ELj32ELN6hipcub17WarpLoadAlgorithmE3EiEvPT3_S3_
    .private_segment_fixed_size: 0
    .sgpr_count:     9
    .sgpr_spill_count: 0
    .symbol:         _Z16warp_load_kernelILj256ELj4ELj32ELN6hipcub17WarpLoadAlgorithmE3EiEvPT3_S3_.kd
    .uniform_work_group_size: 1
    .uses_dynamic_stack: false
    .vgpr_count:     16
    .vgpr_spill_count: 0
    .wavefront_size: 32
    .workgroup_processor_mode: 1
  - .args:
      - .address_space:  global
        .offset:         0
        .size:           8
        .value_kind:     global_buffer
      - .address_space:  global
        .offset:         8
        .size:           8
        .value_kind:     global_buffer
    .group_segment_fixed_size: 0
    .kernarg_segment_align: 8
    .kernarg_segment_size: 16
    .language:       OpenCL C
    .language_version:
      - 2
      - 0
    .max_flat_workgroup_size: 256
    .name:           _Z16warp_load_kernelILj256ELj8ELj32ELN6hipcub17WarpLoadAlgorithmE0EiEvPT3_S3_
    .private_segment_fixed_size: 0
    .sgpr_count:     9
    .sgpr_spill_count: 0
    .symbol:         _Z16warp_load_kernelILj256ELj8ELj32ELN6hipcub17WarpLoadAlgorithmE0EiEvPT3_S3_.kd
    .uniform_work_group_size: 1
    .uses_dynamic_stack: false
    .vgpr_count:     23
    .vgpr_spill_count: 0
    .wavefront_size: 32
    .workgroup_processor_mode: 1
  - .args:
      - .address_space:  global
        .offset:         0
        .size:           8
        .value_kind:     global_buffer
      - .address_space:  global
        .offset:         8
        .size:           8
        .value_kind:     global_buffer
    .group_segment_fixed_size: 0
    .kernarg_segment_align: 8
    .kernarg_segment_size: 16
    .language:       OpenCL C
    .language_version:
      - 2
      - 0
    .max_flat_workgroup_size: 256
    .name:           _Z16warp_load_kernelILj256ELj8ELj32ELN6hipcub17WarpLoadAlgorithmE1EiEvPT3_S3_
    .private_segment_fixed_size: 0
    .sgpr_count:     9
    .sgpr_spill_count: 0
    .symbol:         _Z16warp_load_kernelILj256ELj8ELj32ELN6hipcub17WarpLoadAlgorithmE1EiEvPT3_S3_.kd
    .uniform_work_group_size: 1
    .uses_dynamic_stack: false
    .vgpr_count:     23
    .vgpr_spill_count: 0
    .wavefront_size: 32
    .workgroup_processor_mode: 1
  - .args:
      - .address_space:  global
        .offset:         0
        .size:           8
        .value_kind:     global_buffer
      - .address_space:  global
        .offset:         8
        .size:           8
        .value_kind:     global_buffer
    .group_segment_fixed_size: 0
    .kernarg_segment_align: 8
    .kernarg_segment_size: 16
    .language:       OpenCL C
    .language_version:
      - 2
      - 0
    .max_flat_workgroup_size: 256
    .name:           _Z16warp_load_kernelILj256ELj8ELj32ELN6hipcub17WarpLoadAlgorithmE2EiEvPT3_S3_
    .private_segment_fixed_size: 0
    .sgpr_count:     9
    .sgpr_spill_count: 0
    .symbol:         _Z16warp_load_kernelILj256ELj8ELj32ELN6hipcub17WarpLoadAlgorithmE2EiEvPT3_S3_.kd
    .uniform_work_group_size: 1
    .uses_dynamic_stack: false
    .vgpr_count:     23
    .vgpr_spill_count: 0
    .wavefront_size: 32
    .workgroup_processor_mode: 1
  - .args:
      - .address_space:  global
        .offset:         0
        .size:           8
        .value_kind:     global_buffer
      - .address_space:  global
        .offset:         8
        .size:           8
        .value_kind:     global_buffer
    .group_segment_fixed_size: 8192
    .kernarg_segment_align: 8
    .kernarg_segment_size: 16
    .language:       OpenCL C
    .language_version:
      - 2
      - 0
    .max_flat_workgroup_size: 256
    .name:           _Z16warp_load_kernelILj256ELj8ELj32ELN6hipcub17WarpLoadAlgorithmE3EiEvPT3_S3_
    .private_segment_fixed_size: 0
    .sgpr_count:     9
    .sgpr_spill_count: 0
    .symbol:         _Z16warp_load_kernelILj256ELj8ELj32ELN6hipcub17WarpLoadAlgorithmE3EiEvPT3_S3_.kd
    .uniform_work_group_size: 1
    .uses_dynamic_stack: false
    .vgpr_count:     30
    .vgpr_spill_count: 0
    .wavefront_size: 32
    .workgroup_processor_mode: 1
  - .args:
      - .address_space:  global
        .offset:         0
        .size:           8
        .value_kind:     global_buffer
      - .address_space:  global
        .offset:         8
        .size:           8
        .value_kind:     global_buffer
    .group_segment_fixed_size: 0
    .kernarg_segment_align: 8
    .kernarg_segment_size: 16
    .language:       OpenCL C
    .language_version:
      - 2
      - 0
    .max_flat_workgroup_size: 256
    .name:           _Z16warp_load_kernelILj256ELj16ELj32ELN6hipcub17WarpLoadAlgorithmE0EiEvPT3_S3_
    .private_segment_fixed_size: 0
    .sgpr_count:     9
    .sgpr_spill_count: 0
    .symbol:         _Z16warp_load_kernelILj256ELj16ELj32ELN6hipcub17WarpLoadAlgorithmE0EiEvPT3_S3_.kd
    .uniform_work_group_size: 1
    .uses_dynamic_stack: false
    .vgpr_count:     47
    .vgpr_spill_count: 0
    .wavefront_size: 32
    .workgroup_processor_mode: 1
  - .args:
      - .address_space:  global
        .offset:         0
        .size:           8
        .value_kind:     global_buffer
      - .address_space:  global
        .offset:         8
        .size:           8
        .value_kind:     global_buffer
    .group_segment_fixed_size: 0
    .kernarg_segment_align: 8
    .kernarg_segment_size: 16
    .language:       OpenCL C
    .language_version:
      - 2
      - 0
    .max_flat_workgroup_size: 256
    .name:           _Z16warp_load_kernelILj256ELj16ELj32ELN6hipcub17WarpLoadAlgorithmE1EiEvPT3_S3_
    .private_segment_fixed_size: 0
    .sgpr_count:     9
    .sgpr_spill_count: 0
    .symbol:         _Z16warp_load_kernelILj256ELj16ELj32ELN6hipcub17WarpLoadAlgorithmE1EiEvPT3_S3_.kd
    .uniform_work_group_size: 1
    .uses_dynamic_stack: false
    .vgpr_count:     47
    .vgpr_spill_count: 0
    .wavefront_size: 32
    .workgroup_processor_mode: 1
  - .args:
      - .address_space:  global
        .offset:         0
        .size:           8
        .value_kind:     global_buffer
      - .address_space:  global
        .offset:         8
        .size:           8
        .value_kind:     global_buffer
    .group_segment_fixed_size: 0
    .kernarg_segment_align: 8
    .kernarg_segment_size: 16
    .language:       OpenCL C
    .language_version:
      - 2
      - 0
    .max_flat_workgroup_size: 256
    .name:           _Z16warp_load_kernelILj256ELj16ELj32ELN6hipcub17WarpLoadAlgorithmE2EiEvPT3_S3_
    .private_segment_fixed_size: 0
    .sgpr_count:     9
    .sgpr_spill_count: 0
    .symbol:         _Z16warp_load_kernelILj256ELj16ELj32ELN6hipcub17WarpLoadAlgorithmE2EiEvPT3_S3_.kd
    .uniform_work_group_size: 1
    .uses_dynamic_stack: false
    .vgpr_count:     47
    .vgpr_spill_count: 0
    .wavefront_size: 32
    .workgroup_processor_mode: 1
  - .args:
      - .address_space:  global
        .offset:         0
        .size:           8
        .value_kind:     global_buffer
      - .address_space:  global
        .offset:         8
        .size:           8
        .value_kind:     global_buffer
    .group_segment_fixed_size: 16384
    .kernarg_segment_align: 8
    .kernarg_segment_size: 16
    .language:       OpenCL C
    .language_version:
      - 2
      - 0
    .max_flat_workgroup_size: 256
    .name:           _Z16warp_load_kernelILj256ELj16ELj32ELN6hipcub17WarpLoadAlgorithmE3EiEvPT3_S3_
    .private_segment_fixed_size: 0
    .sgpr_count:     9
    .sgpr_spill_count: 0
    .symbol:         _Z16warp_load_kernelILj256ELj16ELj32ELN6hipcub17WarpLoadAlgorithmE3EiEvPT3_S3_.kd
    .uniform_work_group_size: 1
    .uses_dynamic_stack: false
    .vgpr_count:     65
    .vgpr_spill_count: 0
    .wavefront_size: 32
    .workgroup_processor_mode: 1
  - .args:
      - .address_space:  global
        .offset:         0
        .size:           8
        .value_kind:     global_buffer
      - .address_space:  global
        .offset:         8
        .size:           8
        .value_kind:     global_buffer
    .group_segment_fixed_size: 0
    .kernarg_segment_align: 8
    .kernarg_segment_size: 16
    .language:       OpenCL C
    .language_version:
      - 2
      - 0
    .max_flat_workgroup_size: 256
    .name:           _Z16warp_load_kernelILj256ELj32ELj32ELN6hipcub17WarpLoadAlgorithmE0EiEvPT3_S3_
    .private_segment_fixed_size: 0
    .sgpr_count:     9
    .sgpr_spill_count: 0
    .symbol:         _Z16warp_load_kernelILj256ELj32ELj32ELN6hipcub17WarpLoadAlgorithmE0EiEvPT3_S3_.kd
    .uniform_work_group_size: 1
    .uses_dynamic_stack: false
    .vgpr_count:     63
    .vgpr_spill_count: 0
    .wavefront_size: 32
    .workgroup_processor_mode: 1
  - .args:
      - .address_space:  global
        .offset:         0
        .size:           8
        .value_kind:     global_buffer
      - .address_space:  global
        .offset:         8
        .size:           8
        .value_kind:     global_buffer
    .group_segment_fixed_size: 0
    .kernarg_segment_align: 8
    .kernarg_segment_size: 16
    .language:       OpenCL C
    .language_version:
      - 2
      - 0
    .max_flat_workgroup_size: 256
    .name:           _Z16warp_load_kernelILj256ELj32ELj32ELN6hipcub17WarpLoadAlgorithmE1EiEvPT3_S3_
    .private_segment_fixed_size: 0
    .sgpr_count:     9
    .sgpr_spill_count: 0
    .symbol:         _Z16warp_load_kernelILj256ELj32ELj32ELN6hipcub17WarpLoadAlgorithmE1EiEvPT3_S3_.kd
    .uniform_work_group_size: 1
    .uses_dynamic_stack: false
    .vgpr_count:     63
    .vgpr_spill_count: 0
    .wavefront_size: 32
    .workgroup_processor_mode: 1
  - .args:
      - .address_space:  global
        .offset:         0
        .size:           8
        .value_kind:     global_buffer
      - .address_space:  global
        .offset:         8
        .size:           8
        .value_kind:     global_buffer
    .group_segment_fixed_size: 0
    .kernarg_segment_align: 8
    .kernarg_segment_size: 16
    .language:       OpenCL C
    .language_version:
      - 2
      - 0
    .max_flat_workgroup_size: 256
    .name:           _Z16warp_load_kernelILj256ELj32ELj32ELN6hipcub17WarpLoadAlgorithmE2EiEvPT3_S3_
    .private_segment_fixed_size: 0
    .sgpr_count:     9
    .sgpr_spill_count: 0
    .symbol:         _Z16warp_load_kernelILj256ELj32ELj32ELN6hipcub17WarpLoadAlgorithmE2EiEvPT3_S3_.kd
    .uniform_work_group_size: 1
    .uses_dynamic_stack: false
    .vgpr_count:     63
    .vgpr_spill_count: 0
    .wavefront_size: 32
    .workgroup_processor_mode: 1
  - .args:
      - .address_space:  global
        .offset:         0
        .size:           8
        .value_kind:     global_buffer
      - .address_space:  global
        .offset:         8
        .size:           8
        .value_kind:     global_buffer
    .group_segment_fixed_size: 32768
    .kernarg_segment_align: 8
    .kernarg_segment_size: 16
    .language:       OpenCL C
    .language_version:
      - 2
      - 0
    .max_flat_workgroup_size: 256
    .name:           _Z16warp_load_kernelILj256ELj32ELj32ELN6hipcub17WarpLoadAlgorithmE3EiEvPT3_S3_
    .private_segment_fixed_size: 0
    .sgpr_count:     9
    .sgpr_spill_count: 0
    .symbol:         _Z16warp_load_kernelILj256ELj32ELj32ELN6hipcub17WarpLoadAlgorithmE3EiEvPT3_S3_.kd
    .uniform_work_group_size: 1
    .uses_dynamic_stack: false
    .vgpr_count:     131
    .vgpr_spill_count: 0
    .wavefront_size: 32
    .workgroup_processor_mode: 1
  - .args:
      - .address_space:  global
        .offset:         0
        .size:           8
        .value_kind:     global_buffer
      - .address_space:  global
        .offset:         8
        .size:           8
        .value_kind:     global_buffer
    .group_segment_fixed_size: 0
    .kernarg_segment_align: 8
    .kernarg_segment_size: 16
    .language:       OpenCL C
    .language_version:
      - 2
      - 0
    .max_flat_workgroup_size: 256
    .name:           _Z16warp_load_kernelILj256ELj64ELj32ELN6hipcub17WarpLoadAlgorithmE0EiEvPT3_S3_
    .private_segment_fixed_size: 0
    .sgpr_count:     9
    .sgpr_spill_count: 0
    .symbol:         _Z16warp_load_kernelILj256ELj64ELj32ELN6hipcub17WarpLoadAlgorithmE0EiEvPT3_S3_.kd
    .uniform_work_group_size: 1
    .uses_dynamic_stack: false
    .vgpr_count:     79
    .vgpr_spill_count: 0
    .wavefront_size: 32
    .workgroup_processor_mode: 1
  - .args:
      - .address_space:  global
        .offset:         0
        .size:           8
        .value_kind:     global_buffer
      - .address_space:  global
        .offset:         8
        .size:           8
        .value_kind:     global_buffer
    .group_segment_fixed_size: 0
    .kernarg_segment_align: 8
    .kernarg_segment_size: 16
    .language:       OpenCL C
    .language_version:
      - 2
      - 0
    .max_flat_workgroup_size: 256
    .name:           _Z16warp_load_kernelILj256ELj64ELj32ELN6hipcub17WarpLoadAlgorithmE1EiEvPT3_S3_
    .private_segment_fixed_size: 0
    .sgpr_count:     9
    .sgpr_spill_count: 0
    .symbol:         _Z16warp_load_kernelILj256ELj64ELj32ELN6hipcub17WarpLoadAlgorithmE1EiEvPT3_S3_.kd
    .uniform_work_group_size: 1
    .uses_dynamic_stack: false
    .vgpr_count:     77
    .vgpr_spill_count: 0
    .wavefront_size: 32
    .workgroup_processor_mode: 1
  - .args:
      - .address_space:  global
        .offset:         0
        .size:           8
        .value_kind:     global_buffer
      - .address_space:  global
        .offset:         8
        .size:           8
        .value_kind:     global_buffer
    .group_segment_fixed_size: 0
    .kernarg_segment_align: 8
    .kernarg_segment_size: 16
    .language:       OpenCL C
    .language_version:
      - 2
      - 0
    .max_flat_workgroup_size: 256
    .name:           _Z16warp_load_kernelILj256ELj64ELj32ELN6hipcub17WarpLoadAlgorithmE2EiEvPT3_S3_
    .private_segment_fixed_size: 0
    .sgpr_count:     9
    .sgpr_spill_count: 0
    .symbol:         _Z16warp_load_kernelILj256ELj64ELj32ELN6hipcub17WarpLoadAlgorithmE2EiEvPT3_S3_.kd
    .uniform_work_group_size: 1
    .uses_dynamic_stack: false
    .vgpr_count:     79
    .vgpr_spill_count: 0
    .wavefront_size: 32
    .workgroup_processor_mode: 1
  - .args:
      - .address_space:  global
        .offset:         0
        .size:           8
        .value_kind:     global_buffer
      - .address_space:  global
        .offset:         8
        .size:           8
        .value_kind:     global_buffer
    .group_segment_fixed_size: 0
    .kernarg_segment_align: 8
    .kernarg_segment_size: 16
    .language:       OpenCL C
    .language_version:
      - 2
      - 0
    .max_flat_workgroup_size: 256
    .name:           _Z16warp_load_kernelILj256ELj4ELj32ELN6hipcub17WarpLoadAlgorithmE0EdEvPT3_S3_
    .private_segment_fixed_size: 0
    .sgpr_count:     9
    .sgpr_spill_count: 0
    .symbol:         _Z16warp_load_kernelILj256ELj4ELj32ELN6hipcub17WarpLoadAlgorithmE0EdEvPT3_S3_.kd
    .uniform_work_group_size: 1
    .uses_dynamic_stack: false
    .vgpr_count:     17
    .vgpr_spill_count: 0
    .wavefront_size: 32
    .workgroup_processor_mode: 1
  - .args:
      - .address_space:  global
        .offset:         0
        .size:           8
        .value_kind:     global_buffer
      - .address_space:  global
        .offset:         8
        .size:           8
        .value_kind:     global_buffer
    .group_segment_fixed_size: 0
    .kernarg_segment_align: 8
    .kernarg_segment_size: 16
    .language:       OpenCL C
    .language_version:
      - 2
      - 0
    .max_flat_workgroup_size: 256
    .name:           _Z16warp_load_kernelILj256ELj4ELj32ELN6hipcub17WarpLoadAlgorithmE1EdEvPT3_S3_
    .private_segment_fixed_size: 0
    .sgpr_count:     9
    .sgpr_spill_count: 0
    .symbol:         _Z16warp_load_kernelILj256ELj4ELj32ELN6hipcub17WarpLoadAlgorithmE1EdEvPT3_S3_.kd
    .uniform_work_group_size: 1
    .uses_dynamic_stack: false
    .vgpr_count:     17
    .vgpr_spill_count: 0
    .wavefront_size: 32
    .workgroup_processor_mode: 1
  - .args:
      - .address_space:  global
        .offset:         0
        .size:           8
        .value_kind:     global_buffer
      - .address_space:  global
        .offset:         8
        .size:           8
        .value_kind:     global_buffer
    .group_segment_fixed_size: 0
    .kernarg_segment_align: 8
    .kernarg_segment_size: 16
    .language:       OpenCL C
    .language_version:
      - 2
      - 0
    .max_flat_workgroup_size: 256
    .name:           _Z16warp_load_kernelILj256ELj4ELj32ELN6hipcub17WarpLoadAlgorithmE2EdEvPT3_S3_
    .private_segment_fixed_size: 0
    .sgpr_count:     9
    .sgpr_spill_count: 0
    .symbol:         _Z16warp_load_kernelILj256ELj4ELj32ELN6hipcub17WarpLoadAlgorithmE2EdEvPT3_S3_.kd
    .uniform_work_group_size: 1
    .uses_dynamic_stack: false
    .vgpr_count:     17
    .vgpr_spill_count: 0
    .wavefront_size: 32
    .workgroup_processor_mode: 1
  - .args:
      - .address_space:  global
        .offset:         0
        .size:           8
        .value_kind:     global_buffer
      - .address_space:  global
        .offset:         8
        .size:           8
        .value_kind:     global_buffer
    .group_segment_fixed_size: 8192
    .kernarg_segment_align: 8
    .kernarg_segment_size: 16
    .language:       OpenCL C
    .language_version:
      - 2
      - 0
    .max_flat_workgroup_size: 256
    .name:           _Z16warp_load_kernelILj256ELj4ELj32ELN6hipcub17WarpLoadAlgorithmE3EdEvPT3_S3_
    .private_segment_fixed_size: 0
    .sgpr_count:     9
    .sgpr_spill_count: 0
    .symbol:         _Z16warp_load_kernelILj256ELj4ELj32ELN6hipcub17WarpLoadAlgorithmE3EdEvPT3_S3_.kd
    .uniform_work_group_size: 1
    .uses_dynamic_stack: false
    .vgpr_count:     19
    .vgpr_spill_count: 0
    .wavefront_size: 32
    .workgroup_processor_mode: 1
  - .args:
      - .address_space:  global
        .offset:         0
        .size:           8
        .value_kind:     global_buffer
      - .address_space:  global
        .offset:         8
        .size:           8
        .value_kind:     global_buffer
    .group_segment_fixed_size: 0
    .kernarg_segment_align: 8
    .kernarg_segment_size: 16
    .language:       OpenCL C
    .language_version:
      - 2
      - 0
    .max_flat_workgroup_size: 256
    .name:           _Z16warp_load_kernelILj256ELj8ELj32ELN6hipcub17WarpLoadAlgorithmE0EdEvPT3_S3_
    .private_segment_fixed_size: 0
    .sgpr_count:     9
    .sgpr_spill_count: 0
    .symbol:         _Z16warp_load_kernelILj256ELj8ELj32ELN6hipcub17WarpLoadAlgorithmE0EdEvPT3_S3_.kd
    .uniform_work_group_size: 1
    .uses_dynamic_stack: false
    .vgpr_count:     33
    .vgpr_spill_count: 0
    .wavefront_size: 32
    .workgroup_processor_mode: 1
  - .args:
      - .address_space:  global
        .offset:         0
        .size:           8
        .value_kind:     global_buffer
      - .address_space:  global
        .offset:         8
        .size:           8
        .value_kind:     global_buffer
    .group_segment_fixed_size: 0
    .kernarg_segment_align: 8
    .kernarg_segment_size: 16
    .language:       OpenCL C
    .language_version:
      - 2
      - 0
    .max_flat_workgroup_size: 256
    .name:           _Z16warp_load_kernelILj256ELj8ELj32ELN6hipcub17WarpLoadAlgorithmE1EdEvPT3_S3_
    .private_segment_fixed_size: 0
    .sgpr_count:     9
    .sgpr_spill_count: 0
    .symbol:         _Z16warp_load_kernelILj256ELj8ELj32ELN6hipcub17WarpLoadAlgorithmE1EdEvPT3_S3_.kd
    .uniform_work_group_size: 1
    .uses_dynamic_stack: false
    .vgpr_count:     33
    .vgpr_spill_count: 0
    .wavefront_size: 32
    .workgroup_processor_mode: 1
  - .args:
      - .address_space:  global
        .offset:         0
        .size:           8
        .value_kind:     global_buffer
      - .address_space:  global
        .offset:         8
        .size:           8
        .value_kind:     global_buffer
    .group_segment_fixed_size: 0
    .kernarg_segment_align: 8
    .kernarg_segment_size: 16
    .language:       OpenCL C
    .language_version:
      - 2
      - 0
    .max_flat_workgroup_size: 256
    .name:           _Z16warp_load_kernelILj256ELj8ELj32ELN6hipcub17WarpLoadAlgorithmE2EdEvPT3_S3_
    .private_segment_fixed_size: 0
    .sgpr_count:     9
    .sgpr_spill_count: 0
    .symbol:         _Z16warp_load_kernelILj256ELj8ELj32ELN6hipcub17WarpLoadAlgorithmE2EdEvPT3_S3_.kd
    .uniform_work_group_size: 1
    .uses_dynamic_stack: false
    .vgpr_count:     33
    .vgpr_spill_count: 0
    .wavefront_size: 32
    .workgroup_processor_mode: 1
  - .args:
      - .address_space:  global
        .offset:         0
        .size:           8
        .value_kind:     global_buffer
      - .address_space:  global
        .offset:         8
        .size:           8
        .value_kind:     global_buffer
    .group_segment_fixed_size: 16384
    .kernarg_segment_align: 8
    .kernarg_segment_size: 16
    .language:       OpenCL C
    .language_version:
      - 2
      - 0
    .max_flat_workgroup_size: 256
    .name:           _Z16warp_load_kernelILj256ELj8ELj32ELN6hipcub17WarpLoadAlgorithmE3EdEvPT3_S3_
    .private_segment_fixed_size: 0
    .sgpr_count:     9
    .sgpr_spill_count: 0
    .symbol:         _Z16warp_load_kernelILj256ELj8ELj32ELN6hipcub17WarpLoadAlgorithmE3EdEvPT3_S3_.kd
    .uniform_work_group_size: 1
    .uses_dynamic_stack: false
    .vgpr_count:     36
    .vgpr_spill_count: 0
    .wavefront_size: 32
    .workgroup_processor_mode: 1
  - .args:
      - .address_space:  global
        .offset:         0
        .size:           8
        .value_kind:     global_buffer
      - .address_space:  global
        .offset:         8
        .size:           8
        .value_kind:     global_buffer
    .group_segment_fixed_size: 0
    .kernarg_segment_align: 8
    .kernarg_segment_size: 16
    .language:       OpenCL C
    .language_version:
      - 2
      - 0
    .max_flat_workgroup_size: 256
    .name:           _Z16warp_load_kernelILj256ELj16ELj32ELN6hipcub17WarpLoadAlgorithmE0EdEvPT3_S3_
    .private_segment_fixed_size: 0
    .sgpr_count:     9
    .sgpr_spill_count: 0
    .symbol:         _Z16warp_load_kernelILj256ELj16ELj32ELN6hipcub17WarpLoadAlgorithmE0EdEvPT3_S3_.kd
    .uniform_work_group_size: 1
    .uses_dynamic_stack: false
    .vgpr_count:     59
    .vgpr_spill_count: 0
    .wavefront_size: 32
    .workgroup_processor_mode: 1
  - .args:
      - .address_space:  global
        .offset:         0
        .size:           8
        .value_kind:     global_buffer
      - .address_space:  global
        .offset:         8
        .size:           8
        .value_kind:     global_buffer
    .group_segment_fixed_size: 0
    .kernarg_segment_align: 8
    .kernarg_segment_size: 16
    .language:       OpenCL C
    .language_version:
      - 2
      - 0
    .max_flat_workgroup_size: 256
    .name:           _Z16warp_load_kernelILj256ELj16ELj32ELN6hipcub17WarpLoadAlgorithmE1EdEvPT3_S3_
    .private_segment_fixed_size: 0
    .sgpr_count:     9
    .sgpr_spill_count: 0
    .symbol:         _Z16warp_load_kernelILj256ELj16ELj32ELN6hipcub17WarpLoadAlgorithmE1EdEvPT3_S3_.kd
    .uniform_work_group_size: 1
    .uses_dynamic_stack: false
    .vgpr_count:     61
    .vgpr_spill_count: 0
    .wavefront_size: 32
    .workgroup_processor_mode: 1
  - .args:
      - .address_space:  global
        .offset:         0
        .size:           8
        .value_kind:     global_buffer
      - .address_space:  global
        .offset:         8
        .size:           8
        .value_kind:     global_buffer
    .group_segment_fixed_size: 0
    .kernarg_segment_align: 8
    .kernarg_segment_size: 16
    .language:       OpenCL C
    .language_version:
      - 2
      - 0
    .max_flat_workgroup_size: 256
    .name:           _Z16warp_load_kernelILj256ELj16ELj32ELN6hipcub17WarpLoadAlgorithmE2EdEvPT3_S3_
    .private_segment_fixed_size: 0
    .sgpr_count:     9
    .sgpr_spill_count: 0
    .symbol:         _Z16warp_load_kernelILj256ELj16ELj32ELN6hipcub17WarpLoadAlgorithmE2EdEvPT3_S3_.kd
    .uniform_work_group_size: 1
    .uses_dynamic_stack: false
    .vgpr_count:     59
    .vgpr_spill_count: 0
    .wavefront_size: 32
    .workgroup_processor_mode: 1
  - .args:
      - .address_space:  global
        .offset:         0
        .size:           8
        .value_kind:     global_buffer
      - .address_space:  global
        .offset:         8
        .size:           8
        .value_kind:     global_buffer
    .group_segment_fixed_size: 32768
    .kernarg_segment_align: 8
    .kernarg_segment_size: 16
    .language:       OpenCL C
    .language_version:
      - 2
      - 0
    .max_flat_workgroup_size: 256
    .name:           _Z16warp_load_kernelILj256ELj16ELj32ELN6hipcub17WarpLoadAlgorithmE3EdEvPT3_S3_
    .private_segment_fixed_size: 0
    .sgpr_count:     9
    .sgpr_spill_count: 0
    .symbol:         _Z16warp_load_kernelILj256ELj16ELj32ELN6hipcub17WarpLoadAlgorithmE3EdEvPT3_S3_.kd
    .uniform_work_group_size: 1
    .uses_dynamic_stack: false
    .vgpr_count:     69
    .vgpr_spill_count: 0
    .wavefront_size: 32
    .workgroup_processor_mode: 1
  - .args:
      - .address_space:  global
        .offset:         0
        .size:           8
        .value_kind:     global_buffer
      - .address_space:  global
        .offset:         8
        .size:           8
        .value_kind:     global_buffer
    .group_segment_fixed_size: 0
    .kernarg_segment_align: 8
    .kernarg_segment_size: 16
    .language:       OpenCL C
    .language_version:
      - 2
      - 0
    .max_flat_workgroup_size: 256
    .name:           _Z16warp_load_kernelILj256ELj32ELj32ELN6hipcub17WarpLoadAlgorithmE0EdEvPT3_S3_
    .private_segment_fixed_size: 0
    .sgpr_count:     9
    .sgpr_spill_count: 0
    .symbol:         _Z16warp_load_kernelILj256ELj32ELj32ELN6hipcub17WarpLoadAlgorithmE0EdEvPT3_S3_.kd
    .uniform_work_group_size: 1
    .uses_dynamic_stack: false
    .vgpr_count:     79
    .vgpr_spill_count: 0
    .wavefront_size: 32
    .workgroup_processor_mode: 1
  - .args:
      - .address_space:  global
        .offset:         0
        .size:           8
        .value_kind:     global_buffer
      - .address_space:  global
        .offset:         8
        .size:           8
        .value_kind:     global_buffer
    .group_segment_fixed_size: 0
    .kernarg_segment_align: 8
    .kernarg_segment_size: 16
    .language:       OpenCL C
    .language_version:
      - 2
      - 0
    .max_flat_workgroup_size: 256
    .name:           _Z16warp_load_kernelILj256ELj32ELj32ELN6hipcub17WarpLoadAlgorithmE1EdEvPT3_S3_
    .private_segment_fixed_size: 0
    .sgpr_count:     9
    .sgpr_spill_count: 0
    .symbol:         _Z16warp_load_kernelILj256ELj32ELj32ELN6hipcub17WarpLoadAlgorithmE1EdEvPT3_S3_.kd
    .uniform_work_group_size: 1
    .uses_dynamic_stack: false
    .vgpr_count:     80
    .vgpr_spill_count: 0
    .wavefront_size: 32
    .workgroup_processor_mode: 1
  - .args:
      - .address_space:  global
        .offset:         0
        .size:           8
        .value_kind:     global_buffer
      - .address_space:  global
        .offset:         8
        .size:           8
        .value_kind:     global_buffer
    .group_segment_fixed_size: 0
    .kernarg_segment_align: 8
    .kernarg_segment_size: 16
    .language:       OpenCL C
    .language_version:
      - 2
      - 0
    .max_flat_workgroup_size: 256
    .name:           _Z16warp_load_kernelILj256ELj32ELj32ELN6hipcub17WarpLoadAlgorithmE2EdEvPT3_S3_
    .private_segment_fixed_size: 0
    .sgpr_count:     9
    .sgpr_spill_count: 0
    .symbol:         _Z16warp_load_kernelILj256ELj32ELj32ELN6hipcub17WarpLoadAlgorithmE2EdEvPT3_S3_.kd
    .uniform_work_group_size: 1
    .uses_dynamic_stack: false
    .vgpr_count:     79
    .vgpr_spill_count: 0
    .wavefront_size: 32
    .workgroup_processor_mode: 1
  - .args:
      - .address_space:  global
        .offset:         0
        .size:           8
        .value_kind:     global_buffer
      - .address_space:  global
        .offset:         8
        .size:           8
        .value_kind:     global_buffer
    .group_segment_fixed_size: 0
    .kernarg_segment_align: 8
    .kernarg_segment_size: 16
    .language:       OpenCL C
    .language_version:
      - 2
      - 0
    .max_flat_workgroup_size: 256
    .name:           _Z16warp_load_kernelILj256ELj64ELj32ELN6hipcub17WarpLoadAlgorithmE0EdEvPT3_S3_
    .private_segment_fixed_size: 0
    .sgpr_count:     9
    .sgpr_spill_count: 0
    .symbol:         _Z16warp_load_kernelILj256ELj64ELj32ELN6hipcub17WarpLoadAlgorithmE0EdEvPT3_S3_.kd
    .uniform_work_group_size: 1
    .uses_dynamic_stack: false
    .vgpr_count:     143
    .vgpr_spill_count: 0
    .wavefront_size: 32
    .workgroup_processor_mode: 1
  - .args:
      - .address_space:  global
        .offset:         0
        .size:           8
        .value_kind:     global_buffer
      - .address_space:  global
        .offset:         8
        .size:           8
        .value_kind:     global_buffer
    .group_segment_fixed_size: 0
    .kernarg_segment_align: 8
    .kernarg_segment_size: 16
    .language:       OpenCL C
    .language_version:
      - 2
      - 0
    .max_flat_workgroup_size: 256
    .name:           _Z16warp_load_kernelILj256ELj64ELj32ELN6hipcub17WarpLoadAlgorithmE1EdEvPT3_S3_
    .private_segment_fixed_size: 0
    .sgpr_count:     9
    .sgpr_spill_count: 0
    .symbol:         _Z16warp_load_kernelILj256ELj64ELj32ELN6hipcub17WarpLoadAlgorithmE1EdEvPT3_S3_.kd
    .uniform_work_group_size: 1
    .uses_dynamic_stack: false
    .vgpr_count:     143
    .vgpr_spill_count: 0
    .wavefront_size: 32
    .workgroup_processor_mode: 1
  - .args:
      - .address_space:  global
        .offset:         0
        .size:           8
        .value_kind:     global_buffer
      - .address_space:  global
        .offset:         8
        .size:           8
        .value_kind:     global_buffer
    .group_segment_fixed_size: 0
    .kernarg_segment_align: 8
    .kernarg_segment_size: 16
    .language:       OpenCL C
    .language_version:
      - 2
      - 0
    .max_flat_workgroup_size: 256
    .name:           _Z16warp_load_kernelILj256ELj64ELj32ELN6hipcub17WarpLoadAlgorithmE2EdEvPT3_S3_
    .private_segment_fixed_size: 0
    .sgpr_count:     9
    .sgpr_spill_count: 0
    .symbol:         _Z16warp_load_kernelILj256ELj64ELj32ELN6hipcub17WarpLoadAlgorithmE2EdEvPT3_S3_.kd
    .uniform_work_group_size: 1
    .uses_dynamic_stack: false
    .vgpr_count:     143
    .vgpr_spill_count: 0
    .wavefront_size: 32
    .workgroup_processor_mode: 1
  - .args:
      - .address_space:  global
        .offset:         0
        .size:           8
        .value_kind:     global_buffer
      - .address_space:  global
        .offset:         8
        .size:           8
        .value_kind:     global_buffer
    .group_segment_fixed_size: 0
    .kernarg_segment_align: 8
    .kernarg_segment_size: 16
    .language:       OpenCL C
    .language_version:
      - 2
      - 0
    .max_flat_workgroup_size: 256
    .name:           _Z16warp_load_kernelILj256ELj4ELj64ELN6hipcub17WarpLoadAlgorithmE0EiEvPT3_S3_
    .private_segment_fixed_size: 0
    .sgpr_count:     9
    .sgpr_spill_count: 0
    .symbol:         _Z16warp_load_kernelILj256ELj4ELj64ELN6hipcub17WarpLoadAlgorithmE0EiEvPT3_S3_.kd
    .uniform_work_group_size: 1
    .uses_dynamic_stack: false
    .vgpr_count:     13
    .vgpr_spill_count: 0
    .wavefront_size: 32
    .workgroup_processor_mode: 1
  - .args:
      - .address_space:  global
        .offset:         0
        .size:           8
        .value_kind:     global_buffer
      - .address_space:  global
        .offset:         8
        .size:           8
        .value_kind:     global_buffer
    .group_segment_fixed_size: 0
    .kernarg_segment_align: 8
    .kernarg_segment_size: 16
    .language:       OpenCL C
    .language_version:
      - 2
      - 0
    .max_flat_workgroup_size: 256
    .name:           _Z16warp_load_kernelILj256ELj4ELj64ELN6hipcub17WarpLoadAlgorithmE1EiEvPT3_S3_
    .private_segment_fixed_size: 0
    .sgpr_count:     9
    .sgpr_spill_count: 0
    .symbol:         _Z16warp_load_kernelILj256ELj4ELj64ELN6hipcub17WarpLoadAlgorithmE1EiEvPT3_S3_.kd
    .uniform_work_group_size: 1
    .uses_dynamic_stack: false
    .vgpr_count:     13
    .vgpr_spill_count: 0
    .wavefront_size: 32
    .workgroup_processor_mode: 1
  - .args:
      - .address_space:  global
        .offset:         0
        .size:           8
        .value_kind:     global_buffer
      - .address_space:  global
        .offset:         8
        .size:           8
        .value_kind:     global_buffer
    .group_segment_fixed_size: 0
    .kernarg_segment_align: 8
    .kernarg_segment_size: 16
    .language:       OpenCL C
    .language_version:
      - 2
      - 0
    .max_flat_workgroup_size: 256
    .name:           _Z16warp_load_kernelILj256ELj4ELj64ELN6hipcub17WarpLoadAlgorithmE2EiEvPT3_S3_
    .private_segment_fixed_size: 0
    .sgpr_count:     9
    .sgpr_spill_count: 0
    .symbol:         _Z16warp_load_kernelILj256ELj4ELj64ELN6hipcub17WarpLoadAlgorithmE2EiEvPT3_S3_.kd
    .uniform_work_group_size: 1
    .uses_dynamic_stack: false
    .vgpr_count:     13
    .vgpr_spill_count: 0
    .wavefront_size: 32
    .workgroup_processor_mode: 1
  - .args:
      - .address_space:  global
        .offset:         0
        .size:           8
        .value_kind:     global_buffer
      - .address_space:  global
        .offset:         8
        .size:           8
        .value_kind:     global_buffer
    .group_segment_fixed_size: 4096
    .kernarg_segment_align: 8
    .kernarg_segment_size: 16
    .language:       OpenCL C
    .language_version:
      - 2
      - 0
    .max_flat_workgroup_size: 256
    .name:           _Z16warp_load_kernelILj256ELj4ELj64ELN6hipcub17WarpLoadAlgorithmE3EiEvPT3_S3_
    .private_segment_fixed_size: 0
    .sgpr_count:     9
    .sgpr_spill_count: 0
    .symbol:         _Z16warp_load_kernelILj256ELj4ELj64ELN6hipcub17WarpLoadAlgorithmE3EiEvPT3_S3_.kd
    .uniform_work_group_size: 1
    .uses_dynamic_stack: false
    .vgpr_count:     16
    .vgpr_spill_count: 0
    .wavefront_size: 32
    .workgroup_processor_mode: 1
  - .args:
      - .address_space:  global
        .offset:         0
        .size:           8
        .value_kind:     global_buffer
      - .address_space:  global
        .offset:         8
        .size:           8
        .value_kind:     global_buffer
    .group_segment_fixed_size: 0
    .kernarg_segment_align: 8
    .kernarg_segment_size: 16
    .language:       OpenCL C
    .language_version:
      - 2
      - 0
    .max_flat_workgroup_size: 256
    .name:           _Z16warp_load_kernelILj256ELj8ELj64ELN6hipcub17WarpLoadAlgorithmE0EiEvPT3_S3_
    .private_segment_fixed_size: 0
    .sgpr_count:     9
    .sgpr_spill_count: 0
    .symbol:         _Z16warp_load_kernelILj256ELj8ELj64ELN6hipcub17WarpLoadAlgorithmE0EiEvPT3_S3_.kd
    .uniform_work_group_size: 1
    .uses_dynamic_stack: false
    .vgpr_count:     23
    .vgpr_spill_count: 0
    .wavefront_size: 32
    .workgroup_processor_mode: 1
  - .args:
      - .address_space:  global
        .offset:         0
        .size:           8
        .value_kind:     global_buffer
      - .address_space:  global
        .offset:         8
        .size:           8
        .value_kind:     global_buffer
    .group_segment_fixed_size: 0
    .kernarg_segment_align: 8
    .kernarg_segment_size: 16
    .language:       OpenCL C
    .language_version:
      - 2
      - 0
    .max_flat_workgroup_size: 256
    .name:           _Z16warp_load_kernelILj256ELj8ELj64ELN6hipcub17WarpLoadAlgorithmE1EiEvPT3_S3_
    .private_segment_fixed_size: 0
    .sgpr_count:     9
    .sgpr_spill_count: 0
    .symbol:         _Z16warp_load_kernelILj256ELj8ELj64ELN6hipcub17WarpLoadAlgorithmE1EiEvPT3_S3_.kd
    .uniform_work_group_size: 1
    .uses_dynamic_stack: false
    .vgpr_count:     23
    .vgpr_spill_count: 0
    .wavefront_size: 32
    .workgroup_processor_mode: 1
  - .args:
      - .address_space:  global
        .offset:         0
        .size:           8
        .value_kind:     global_buffer
      - .address_space:  global
        .offset:         8
        .size:           8
        .value_kind:     global_buffer
    .group_segment_fixed_size: 0
    .kernarg_segment_align: 8
    .kernarg_segment_size: 16
    .language:       OpenCL C
    .language_version:
      - 2
      - 0
    .max_flat_workgroup_size: 256
    .name:           _Z16warp_load_kernelILj256ELj8ELj64ELN6hipcub17WarpLoadAlgorithmE2EiEvPT3_S3_
    .private_segment_fixed_size: 0
    .sgpr_count:     9
    .sgpr_spill_count: 0
    .symbol:         _Z16warp_load_kernelILj256ELj8ELj64ELN6hipcub17WarpLoadAlgorithmE2EiEvPT3_S3_.kd
    .uniform_work_group_size: 1
    .uses_dynamic_stack: false
    .vgpr_count:     23
    .vgpr_spill_count: 0
    .wavefront_size: 32
    .workgroup_processor_mode: 1
  - .args:
      - .address_space:  global
        .offset:         0
        .size:           8
        .value_kind:     global_buffer
      - .address_space:  global
        .offset:         8
        .size:           8
        .value_kind:     global_buffer
    .group_segment_fixed_size: 8192
    .kernarg_segment_align: 8
    .kernarg_segment_size: 16
    .language:       OpenCL C
    .language_version:
      - 2
      - 0
    .max_flat_workgroup_size: 256
    .name:           _Z16warp_load_kernelILj256ELj8ELj64ELN6hipcub17WarpLoadAlgorithmE3EiEvPT3_S3_
    .private_segment_fixed_size: 0
    .sgpr_count:     9
    .sgpr_spill_count: 0
    .symbol:         _Z16warp_load_kernelILj256ELj8ELj64ELN6hipcub17WarpLoadAlgorithmE3EiEvPT3_S3_.kd
    .uniform_work_group_size: 1
    .uses_dynamic_stack: false
    .vgpr_count:     30
    .vgpr_spill_count: 0
    .wavefront_size: 32
    .workgroup_processor_mode: 1
  - .args:
      - .address_space:  global
        .offset:         0
        .size:           8
        .value_kind:     global_buffer
      - .address_space:  global
        .offset:         8
        .size:           8
        .value_kind:     global_buffer
    .group_segment_fixed_size: 0
    .kernarg_segment_align: 8
    .kernarg_segment_size: 16
    .language:       OpenCL C
    .language_version:
      - 2
      - 0
    .max_flat_workgroup_size: 256
    .name:           _Z16warp_load_kernelILj256ELj16ELj64ELN6hipcub17WarpLoadAlgorithmE0EiEvPT3_S3_
    .private_segment_fixed_size: 0
    .sgpr_count:     9
    .sgpr_spill_count: 0
    .symbol:         _Z16warp_load_kernelILj256ELj16ELj64ELN6hipcub17WarpLoadAlgorithmE0EiEvPT3_S3_.kd
    .uniform_work_group_size: 1
    .uses_dynamic_stack: false
    .vgpr_count:     47
    .vgpr_spill_count: 0
    .wavefront_size: 32
    .workgroup_processor_mode: 1
  - .args:
      - .address_space:  global
        .offset:         0
        .size:           8
        .value_kind:     global_buffer
      - .address_space:  global
        .offset:         8
        .size:           8
        .value_kind:     global_buffer
    .group_segment_fixed_size: 0
    .kernarg_segment_align: 8
    .kernarg_segment_size: 16
    .language:       OpenCL C
    .language_version:
      - 2
      - 0
    .max_flat_workgroup_size: 256
    .name:           _Z16warp_load_kernelILj256ELj16ELj64ELN6hipcub17WarpLoadAlgorithmE1EiEvPT3_S3_
    .private_segment_fixed_size: 0
    .sgpr_count:     9
    .sgpr_spill_count: 0
    .symbol:         _Z16warp_load_kernelILj256ELj16ELj64ELN6hipcub17WarpLoadAlgorithmE1EiEvPT3_S3_.kd
    .uniform_work_group_size: 1
    .uses_dynamic_stack: false
    .vgpr_count:     47
    .vgpr_spill_count: 0
    .wavefront_size: 32
    .workgroup_processor_mode: 1
  - .args:
      - .address_space:  global
        .offset:         0
        .size:           8
        .value_kind:     global_buffer
      - .address_space:  global
        .offset:         8
        .size:           8
        .value_kind:     global_buffer
    .group_segment_fixed_size: 0
    .kernarg_segment_align: 8
    .kernarg_segment_size: 16
    .language:       OpenCL C
    .language_version:
      - 2
      - 0
    .max_flat_workgroup_size: 256
    .name:           _Z16warp_load_kernelILj256ELj16ELj64ELN6hipcub17WarpLoadAlgorithmE2EiEvPT3_S3_
    .private_segment_fixed_size: 0
    .sgpr_count:     9
    .sgpr_spill_count: 0
    .symbol:         _Z16warp_load_kernelILj256ELj16ELj64ELN6hipcub17WarpLoadAlgorithmE2EiEvPT3_S3_.kd
    .uniform_work_group_size: 1
    .uses_dynamic_stack: false
    .vgpr_count:     47
    .vgpr_spill_count: 0
    .wavefront_size: 32
    .workgroup_processor_mode: 1
  - .args:
      - .address_space:  global
        .offset:         0
        .size:           8
        .value_kind:     global_buffer
      - .address_space:  global
        .offset:         8
        .size:           8
        .value_kind:     global_buffer
    .group_segment_fixed_size: 16384
    .kernarg_segment_align: 8
    .kernarg_segment_size: 16
    .language:       OpenCL C
    .language_version:
      - 2
      - 0
    .max_flat_workgroup_size: 256
    .name:           _Z16warp_load_kernelILj256ELj16ELj64ELN6hipcub17WarpLoadAlgorithmE3EiEvPT3_S3_
    .private_segment_fixed_size: 0
    .sgpr_count:     9
    .sgpr_spill_count: 0
    .symbol:         _Z16warp_load_kernelILj256ELj16ELj64ELN6hipcub17WarpLoadAlgorithmE3EiEvPT3_S3_.kd
    .uniform_work_group_size: 1
    .uses_dynamic_stack: false
    .vgpr_count:     64
    .vgpr_spill_count: 0
    .wavefront_size: 32
    .workgroup_processor_mode: 1
  - .args:
      - .address_space:  global
        .offset:         0
        .size:           8
        .value_kind:     global_buffer
      - .address_space:  global
        .offset:         8
        .size:           8
        .value_kind:     global_buffer
    .group_segment_fixed_size: 0
    .kernarg_segment_align: 8
    .kernarg_segment_size: 16
    .language:       OpenCL C
    .language_version:
      - 2
      - 0
    .max_flat_workgroup_size: 256
    .name:           _Z16warp_load_kernelILj256ELj32ELj64ELN6hipcub17WarpLoadAlgorithmE0EiEvPT3_S3_
    .private_segment_fixed_size: 0
    .sgpr_count:     9
    .sgpr_spill_count: 0
    .symbol:         _Z16warp_load_kernelILj256ELj32ELj64ELN6hipcub17WarpLoadAlgorithmE0EiEvPT3_S3_.kd
    .uniform_work_group_size: 1
    .uses_dynamic_stack: false
    .vgpr_count:     63
    .vgpr_spill_count: 0
    .wavefront_size: 32
    .workgroup_processor_mode: 1
  - .args:
      - .address_space:  global
        .offset:         0
        .size:           8
        .value_kind:     global_buffer
      - .address_space:  global
        .offset:         8
        .size:           8
        .value_kind:     global_buffer
    .group_segment_fixed_size: 0
    .kernarg_segment_align: 8
    .kernarg_segment_size: 16
    .language:       OpenCL C
    .language_version:
      - 2
      - 0
    .max_flat_workgroup_size: 256
    .name:           _Z16warp_load_kernelILj256ELj32ELj64ELN6hipcub17WarpLoadAlgorithmE1EiEvPT3_S3_
    .private_segment_fixed_size: 0
    .sgpr_count:     9
    .sgpr_spill_count: 0
    .symbol:         _Z16warp_load_kernelILj256ELj32ELj64ELN6hipcub17WarpLoadAlgorithmE1EiEvPT3_S3_.kd
    .uniform_work_group_size: 1
    .uses_dynamic_stack: false
    .vgpr_count:     63
    .vgpr_spill_count: 0
    .wavefront_size: 32
    .workgroup_processor_mode: 1
  - .args:
      - .address_space:  global
        .offset:         0
        .size:           8
        .value_kind:     global_buffer
      - .address_space:  global
        .offset:         8
        .size:           8
        .value_kind:     global_buffer
    .group_segment_fixed_size: 0
    .kernarg_segment_align: 8
    .kernarg_segment_size: 16
    .language:       OpenCL C
    .language_version:
      - 2
      - 0
    .max_flat_workgroup_size: 256
    .name:           _Z16warp_load_kernelILj256ELj32ELj64ELN6hipcub17WarpLoadAlgorithmE2EiEvPT3_S3_
    .private_segment_fixed_size: 0
    .sgpr_count:     9
    .sgpr_spill_count: 0
    .symbol:         _Z16warp_load_kernelILj256ELj32ELj64ELN6hipcub17WarpLoadAlgorithmE2EiEvPT3_S3_.kd
    .uniform_work_group_size: 1
    .uses_dynamic_stack: false
    .vgpr_count:     63
    .vgpr_spill_count: 0
    .wavefront_size: 32
    .workgroup_processor_mode: 1
  - .args:
      - .address_space:  global
        .offset:         0
        .size:           8
        .value_kind:     global_buffer
      - .address_space:  global
        .offset:         8
        .size:           8
        .value_kind:     global_buffer
    .group_segment_fixed_size: 32768
    .kernarg_segment_align: 8
    .kernarg_segment_size: 16
    .language:       OpenCL C
    .language_version:
      - 2
      - 0
    .max_flat_workgroup_size: 256
    .name:           _Z16warp_load_kernelILj256ELj32ELj64ELN6hipcub17WarpLoadAlgorithmE3EiEvPT3_S3_
    .private_segment_fixed_size: 0
    .sgpr_count:     9
    .sgpr_spill_count: 0
    .symbol:         _Z16warp_load_kernelILj256ELj32ELj64ELN6hipcub17WarpLoadAlgorithmE3EiEvPT3_S3_.kd
    .uniform_work_group_size: 1
    .uses_dynamic_stack: false
    .vgpr_count:     128
    .vgpr_spill_count: 0
    .wavefront_size: 32
    .workgroup_processor_mode: 1
  - .args:
      - .address_space:  global
        .offset:         0
        .size:           8
        .value_kind:     global_buffer
      - .address_space:  global
        .offset:         8
        .size:           8
        .value_kind:     global_buffer
    .group_segment_fixed_size: 0
    .kernarg_segment_align: 8
    .kernarg_segment_size: 16
    .language:       OpenCL C
    .language_version:
      - 2
      - 0
    .max_flat_workgroup_size: 256
    .name:           _Z16warp_load_kernelILj256ELj64ELj64ELN6hipcub17WarpLoadAlgorithmE0EiEvPT3_S3_
    .private_segment_fixed_size: 0
    .sgpr_count:     9
    .sgpr_spill_count: 0
    .symbol:         _Z16warp_load_kernelILj256ELj64ELj64ELN6hipcub17WarpLoadAlgorithmE0EiEvPT3_S3_.kd
    .uniform_work_group_size: 1
    .uses_dynamic_stack: false
    .vgpr_count:     79
    .vgpr_spill_count: 0
    .wavefront_size: 32
    .workgroup_processor_mode: 1
  - .args:
      - .address_space:  global
        .offset:         0
        .size:           8
        .value_kind:     global_buffer
      - .address_space:  global
        .offset:         8
        .size:           8
        .value_kind:     global_buffer
    .group_segment_fixed_size: 0
    .kernarg_segment_align: 8
    .kernarg_segment_size: 16
    .language:       OpenCL C
    .language_version:
      - 2
      - 0
    .max_flat_workgroup_size: 256
    .name:           _Z16warp_load_kernelILj256ELj64ELj64ELN6hipcub17WarpLoadAlgorithmE1EiEvPT3_S3_
    .private_segment_fixed_size: 0
    .sgpr_count:     9
    .sgpr_spill_count: 0
    .symbol:         _Z16warp_load_kernelILj256ELj64ELj64ELN6hipcub17WarpLoadAlgorithmE1EiEvPT3_S3_.kd
    .uniform_work_group_size: 1
    .uses_dynamic_stack: false
    .vgpr_count:     79
    .vgpr_spill_count: 0
    .wavefront_size: 32
    .workgroup_processor_mode: 1
  - .args:
      - .address_space:  global
        .offset:         0
        .size:           8
        .value_kind:     global_buffer
      - .address_space:  global
        .offset:         8
        .size:           8
        .value_kind:     global_buffer
    .group_segment_fixed_size: 0
    .kernarg_segment_align: 8
    .kernarg_segment_size: 16
    .language:       OpenCL C
    .language_version:
      - 2
      - 0
    .max_flat_workgroup_size: 256
    .name:           _Z16warp_load_kernelILj256ELj64ELj64ELN6hipcub17WarpLoadAlgorithmE2EiEvPT3_S3_
    .private_segment_fixed_size: 0
    .sgpr_count:     9
    .sgpr_spill_count: 0
    .symbol:         _Z16warp_load_kernelILj256ELj64ELj64ELN6hipcub17WarpLoadAlgorithmE2EiEvPT3_S3_.kd
    .uniform_work_group_size: 1
    .uses_dynamic_stack: false
    .vgpr_count:     79
    .vgpr_spill_count: 0
    .wavefront_size: 32
    .workgroup_processor_mode: 1
  - .args:
      - .address_space:  global
        .offset:         0
        .size:           8
        .value_kind:     global_buffer
      - .address_space:  global
        .offset:         8
        .size:           8
        .value_kind:     global_buffer
    .group_segment_fixed_size: 0
    .kernarg_segment_align: 8
    .kernarg_segment_size: 16
    .language:       OpenCL C
    .language_version:
      - 2
      - 0
    .max_flat_workgroup_size: 256
    .name:           _Z16warp_load_kernelILj256ELj4ELj64ELN6hipcub17WarpLoadAlgorithmE0EdEvPT3_S3_
    .private_segment_fixed_size: 0
    .sgpr_count:     9
    .sgpr_spill_count: 0
    .symbol:         _Z16warp_load_kernelILj256ELj4ELj64ELN6hipcub17WarpLoadAlgorithmE0EdEvPT3_S3_.kd
    .uniform_work_group_size: 1
    .uses_dynamic_stack: false
    .vgpr_count:     17
    .vgpr_spill_count: 0
    .wavefront_size: 32
    .workgroup_processor_mode: 1
  - .args:
      - .address_space:  global
        .offset:         0
        .size:           8
        .value_kind:     global_buffer
      - .address_space:  global
        .offset:         8
        .size:           8
        .value_kind:     global_buffer
    .group_segment_fixed_size: 0
    .kernarg_segment_align: 8
    .kernarg_segment_size: 16
    .language:       OpenCL C
    .language_version:
      - 2
      - 0
    .max_flat_workgroup_size: 256
    .name:           _Z16warp_load_kernelILj256ELj4ELj64ELN6hipcub17WarpLoadAlgorithmE1EdEvPT3_S3_
    .private_segment_fixed_size: 0
    .sgpr_count:     9
    .sgpr_spill_count: 0
    .symbol:         _Z16warp_load_kernelILj256ELj4ELj64ELN6hipcub17WarpLoadAlgorithmE1EdEvPT3_S3_.kd
    .uniform_work_group_size: 1
    .uses_dynamic_stack: false
    .vgpr_count:     17
    .vgpr_spill_count: 0
    .wavefront_size: 32
    .workgroup_processor_mode: 1
  - .args:
      - .address_space:  global
        .offset:         0
        .size:           8
        .value_kind:     global_buffer
      - .address_space:  global
        .offset:         8
        .size:           8
        .value_kind:     global_buffer
    .group_segment_fixed_size: 0
    .kernarg_segment_align: 8
    .kernarg_segment_size: 16
    .language:       OpenCL C
    .language_version:
      - 2
      - 0
    .max_flat_workgroup_size: 256
    .name:           _Z16warp_load_kernelILj256ELj4ELj64ELN6hipcub17WarpLoadAlgorithmE2EdEvPT3_S3_
    .private_segment_fixed_size: 0
    .sgpr_count:     9
    .sgpr_spill_count: 0
    .symbol:         _Z16warp_load_kernelILj256ELj4ELj64ELN6hipcub17WarpLoadAlgorithmE2EdEvPT3_S3_.kd
    .uniform_work_group_size: 1
    .uses_dynamic_stack: false
    .vgpr_count:     17
    .vgpr_spill_count: 0
    .wavefront_size: 32
    .workgroup_processor_mode: 1
  - .args:
      - .address_space:  global
        .offset:         0
        .size:           8
        .value_kind:     global_buffer
      - .address_space:  global
        .offset:         8
        .size:           8
        .value_kind:     global_buffer
    .group_segment_fixed_size: 8192
    .kernarg_segment_align: 8
    .kernarg_segment_size: 16
    .language:       OpenCL C
    .language_version:
      - 2
      - 0
    .max_flat_workgroup_size: 256
    .name:           _Z16warp_load_kernelILj256ELj4ELj64ELN6hipcub17WarpLoadAlgorithmE3EdEvPT3_S3_
    .private_segment_fixed_size: 0
    .sgpr_count:     9
    .sgpr_spill_count: 0
    .symbol:         _Z16warp_load_kernelILj256ELj4ELj64ELN6hipcub17WarpLoadAlgorithmE3EdEvPT3_S3_.kd
    .uniform_work_group_size: 1
    .uses_dynamic_stack: false
    .vgpr_count:     19
    .vgpr_spill_count: 0
    .wavefront_size: 32
    .workgroup_processor_mode: 1
  - .args:
      - .address_space:  global
        .offset:         0
        .size:           8
        .value_kind:     global_buffer
      - .address_space:  global
        .offset:         8
        .size:           8
        .value_kind:     global_buffer
    .group_segment_fixed_size: 0
    .kernarg_segment_align: 8
    .kernarg_segment_size: 16
    .language:       OpenCL C
    .language_version:
      - 2
      - 0
    .max_flat_workgroup_size: 256
    .name:           _Z16warp_load_kernelILj256ELj8ELj64ELN6hipcub17WarpLoadAlgorithmE0EdEvPT3_S3_
    .private_segment_fixed_size: 0
    .sgpr_count:     9
    .sgpr_spill_count: 0
    .symbol:         _Z16warp_load_kernelILj256ELj8ELj64ELN6hipcub17WarpLoadAlgorithmE0EdEvPT3_S3_.kd
    .uniform_work_group_size: 1
    .uses_dynamic_stack: false
    .vgpr_count:     33
    .vgpr_spill_count: 0
    .wavefront_size: 32
    .workgroup_processor_mode: 1
  - .args:
      - .address_space:  global
        .offset:         0
        .size:           8
        .value_kind:     global_buffer
      - .address_space:  global
        .offset:         8
        .size:           8
        .value_kind:     global_buffer
    .group_segment_fixed_size: 0
    .kernarg_segment_align: 8
    .kernarg_segment_size: 16
    .language:       OpenCL C
    .language_version:
      - 2
      - 0
    .max_flat_workgroup_size: 256
    .name:           _Z16warp_load_kernelILj256ELj8ELj64ELN6hipcub17WarpLoadAlgorithmE1EdEvPT3_S3_
    .private_segment_fixed_size: 0
    .sgpr_count:     9
    .sgpr_spill_count: 0
    .symbol:         _Z16warp_load_kernelILj256ELj8ELj64ELN6hipcub17WarpLoadAlgorithmE1EdEvPT3_S3_.kd
    .uniform_work_group_size: 1
    .uses_dynamic_stack: false
    .vgpr_count:     33
    .vgpr_spill_count: 0
    .wavefront_size: 32
    .workgroup_processor_mode: 1
  - .args:
      - .address_space:  global
        .offset:         0
        .size:           8
        .value_kind:     global_buffer
      - .address_space:  global
        .offset:         8
        .size:           8
        .value_kind:     global_buffer
    .group_segment_fixed_size: 0
    .kernarg_segment_align: 8
    .kernarg_segment_size: 16
    .language:       OpenCL C
    .language_version:
      - 2
      - 0
    .max_flat_workgroup_size: 256
    .name:           _Z16warp_load_kernelILj256ELj8ELj64ELN6hipcub17WarpLoadAlgorithmE2EdEvPT3_S3_
    .private_segment_fixed_size: 0
    .sgpr_count:     9
    .sgpr_spill_count: 0
    .symbol:         _Z16warp_load_kernelILj256ELj8ELj64ELN6hipcub17WarpLoadAlgorithmE2EdEvPT3_S3_.kd
    .uniform_work_group_size: 1
    .uses_dynamic_stack: false
    .vgpr_count:     33
    .vgpr_spill_count: 0
    .wavefront_size: 32
    .workgroup_processor_mode: 1
  - .args:
      - .address_space:  global
        .offset:         0
        .size:           8
        .value_kind:     global_buffer
      - .address_space:  global
        .offset:         8
        .size:           8
        .value_kind:     global_buffer
    .group_segment_fixed_size: 16384
    .kernarg_segment_align: 8
    .kernarg_segment_size: 16
    .language:       OpenCL C
    .language_version:
      - 2
      - 0
    .max_flat_workgroup_size: 256
    .name:           _Z16warp_load_kernelILj256ELj8ELj64ELN6hipcub17WarpLoadAlgorithmE3EdEvPT3_S3_
    .private_segment_fixed_size: 0
    .sgpr_count:     9
    .sgpr_spill_count: 0
    .symbol:         _Z16warp_load_kernelILj256ELj8ELj64ELN6hipcub17WarpLoadAlgorithmE3EdEvPT3_S3_.kd
    .uniform_work_group_size: 1
    .uses_dynamic_stack: false
    .vgpr_count:     36
    .vgpr_spill_count: 0
    .wavefront_size: 32
    .workgroup_processor_mode: 1
  - .args:
      - .address_space:  global
        .offset:         0
        .size:           8
        .value_kind:     global_buffer
      - .address_space:  global
        .offset:         8
        .size:           8
        .value_kind:     global_buffer
    .group_segment_fixed_size: 0
    .kernarg_segment_align: 8
    .kernarg_segment_size: 16
    .language:       OpenCL C
    .language_version:
      - 2
      - 0
    .max_flat_workgroup_size: 256
    .name:           _Z16warp_load_kernelILj256ELj16ELj64ELN6hipcub17WarpLoadAlgorithmE0EdEvPT3_S3_
    .private_segment_fixed_size: 0
    .sgpr_count:     9
    .sgpr_spill_count: 0
    .symbol:         _Z16warp_load_kernelILj256ELj16ELj64ELN6hipcub17WarpLoadAlgorithmE0EdEvPT3_S3_.kd
    .uniform_work_group_size: 1
    .uses_dynamic_stack: false
    .vgpr_count:     59
    .vgpr_spill_count: 0
    .wavefront_size: 32
    .workgroup_processor_mode: 1
  - .args:
      - .address_space:  global
        .offset:         0
        .size:           8
        .value_kind:     global_buffer
      - .address_space:  global
        .offset:         8
        .size:           8
        .value_kind:     global_buffer
    .group_segment_fixed_size: 0
    .kernarg_segment_align: 8
    .kernarg_segment_size: 16
    .language:       OpenCL C
    .language_version:
      - 2
      - 0
    .max_flat_workgroup_size: 256
    .name:           _Z16warp_load_kernelILj256ELj16ELj64ELN6hipcub17WarpLoadAlgorithmE1EdEvPT3_S3_
    .private_segment_fixed_size: 0
    .sgpr_count:     9
    .sgpr_spill_count: 0
    .symbol:         _Z16warp_load_kernelILj256ELj16ELj64ELN6hipcub17WarpLoadAlgorithmE1EdEvPT3_S3_.kd
    .uniform_work_group_size: 1
    .uses_dynamic_stack: false
    .vgpr_count:     61
    .vgpr_spill_count: 0
    .wavefront_size: 32
    .workgroup_processor_mode: 1
  - .args:
      - .address_space:  global
        .offset:         0
        .size:           8
        .value_kind:     global_buffer
      - .address_space:  global
        .offset:         8
        .size:           8
        .value_kind:     global_buffer
    .group_segment_fixed_size: 0
    .kernarg_segment_align: 8
    .kernarg_segment_size: 16
    .language:       OpenCL C
    .language_version:
      - 2
      - 0
    .max_flat_workgroup_size: 256
    .name:           _Z16warp_load_kernelILj256ELj16ELj64ELN6hipcub17WarpLoadAlgorithmE2EdEvPT3_S3_
    .private_segment_fixed_size: 0
    .sgpr_count:     9
    .sgpr_spill_count: 0
    .symbol:         _Z16warp_load_kernelILj256ELj16ELj64ELN6hipcub17WarpLoadAlgorithmE2EdEvPT3_S3_.kd
    .uniform_work_group_size: 1
    .uses_dynamic_stack: false
    .vgpr_count:     59
    .vgpr_spill_count: 0
    .wavefront_size: 32
    .workgroup_processor_mode: 1
  - .args:
      - .address_space:  global
        .offset:         0
        .size:           8
        .value_kind:     global_buffer
      - .address_space:  global
        .offset:         8
        .size:           8
        .value_kind:     global_buffer
    .group_segment_fixed_size: 0
    .kernarg_segment_align: 8
    .kernarg_segment_size: 16
    .language:       OpenCL C
    .language_version:
      - 2
      - 0
    .max_flat_workgroup_size: 256
    .name:           _Z16warp_load_kernelILj256ELj32ELj64ELN6hipcub17WarpLoadAlgorithmE0EdEvPT3_S3_
    .private_segment_fixed_size: 0
    .sgpr_count:     9
    .sgpr_spill_count: 0
    .symbol:         _Z16warp_load_kernelILj256ELj32ELj64ELN6hipcub17WarpLoadAlgorithmE0EdEvPT3_S3_.kd
    .uniform_work_group_size: 1
    .uses_dynamic_stack: false
    .vgpr_count:     79
    .vgpr_spill_count: 0
    .wavefront_size: 32
    .workgroup_processor_mode: 1
  - .args:
      - .address_space:  global
        .offset:         0
        .size:           8
        .value_kind:     global_buffer
      - .address_space:  global
        .offset:         8
        .size:           8
        .value_kind:     global_buffer
    .group_segment_fixed_size: 0
    .kernarg_segment_align: 8
    .kernarg_segment_size: 16
    .language:       OpenCL C
    .language_version:
      - 2
      - 0
    .max_flat_workgroup_size: 256
    .name:           _Z16warp_load_kernelILj256ELj32ELj64ELN6hipcub17WarpLoadAlgorithmE1EdEvPT3_S3_
    .private_segment_fixed_size: 0
    .sgpr_count:     9
    .sgpr_spill_count: 0
    .symbol:         _Z16warp_load_kernelILj256ELj32ELj64ELN6hipcub17WarpLoadAlgorithmE1EdEvPT3_S3_.kd
    .uniform_work_group_size: 1
    .uses_dynamic_stack: false
    .vgpr_count:     79
    .vgpr_spill_count: 0
    .wavefront_size: 32
    .workgroup_processor_mode: 1
  - .args:
      - .address_space:  global
        .offset:         0
        .size:           8
        .value_kind:     global_buffer
      - .address_space:  global
        .offset:         8
        .size:           8
        .value_kind:     global_buffer
    .group_segment_fixed_size: 0
    .kernarg_segment_align: 8
    .kernarg_segment_size: 16
    .language:       OpenCL C
    .language_version:
      - 2
      - 0
    .max_flat_workgroup_size: 256
    .name:           _Z16warp_load_kernelILj256ELj32ELj64ELN6hipcub17WarpLoadAlgorithmE2EdEvPT3_S3_
    .private_segment_fixed_size: 0
    .sgpr_count:     9
    .sgpr_spill_count: 0
    .symbol:         _Z16warp_load_kernelILj256ELj32ELj64ELN6hipcub17WarpLoadAlgorithmE2EdEvPT3_S3_.kd
    .uniform_work_group_size: 1
    .uses_dynamic_stack: false
    .vgpr_count:     79
    .vgpr_spill_count: 0
    .wavefront_size: 32
    .workgroup_processor_mode: 1
  - .args:
      - .address_space:  global
        .offset:         0
        .size:           8
        .value_kind:     global_buffer
      - .address_space:  global
        .offset:         8
        .size:           8
        .value_kind:     global_buffer
    .group_segment_fixed_size: 0
    .kernarg_segment_align: 8
    .kernarg_segment_size: 16
    .language:       OpenCL C
    .language_version:
      - 2
      - 0
    .max_flat_workgroup_size: 256
    .name:           _Z16warp_load_kernelILj256ELj64ELj64ELN6hipcub17WarpLoadAlgorithmE0EdEvPT3_S3_
    .private_segment_fixed_size: 0
    .sgpr_count:     9
    .sgpr_spill_count: 0
    .symbol:         _Z16warp_load_kernelILj256ELj64ELj64ELN6hipcub17WarpLoadAlgorithmE0EdEvPT3_S3_.kd
    .uniform_work_group_size: 1
    .uses_dynamic_stack: false
    .vgpr_count:     143
    .vgpr_spill_count: 0
    .wavefront_size: 32
    .workgroup_processor_mode: 1
  - .args:
      - .address_space:  global
        .offset:         0
        .size:           8
        .value_kind:     global_buffer
      - .address_space:  global
        .offset:         8
        .size:           8
        .value_kind:     global_buffer
    .group_segment_fixed_size: 0
    .kernarg_segment_align: 8
    .kernarg_segment_size: 16
    .language:       OpenCL C
    .language_version:
      - 2
      - 0
    .max_flat_workgroup_size: 256
    .name:           _Z16warp_load_kernelILj256ELj64ELj64ELN6hipcub17WarpLoadAlgorithmE1EdEvPT3_S3_
    .private_segment_fixed_size: 0
    .sgpr_count:     9
    .sgpr_spill_count: 0
    .symbol:         _Z16warp_load_kernelILj256ELj64ELj64ELN6hipcub17WarpLoadAlgorithmE1EdEvPT3_S3_.kd
    .uniform_work_group_size: 1
    .uses_dynamic_stack: false
    .vgpr_count:     143
    .vgpr_spill_count: 0
    .wavefront_size: 32
    .workgroup_processor_mode: 1
  - .args:
      - .address_space:  global
        .offset:         0
        .size:           8
        .value_kind:     global_buffer
      - .address_space:  global
        .offset:         8
        .size:           8
        .value_kind:     global_buffer
    .group_segment_fixed_size: 0
    .kernarg_segment_align: 8
    .kernarg_segment_size: 16
    .language:       OpenCL C
    .language_version:
      - 2
      - 0
    .max_flat_workgroup_size: 256
    .name:           _Z16warp_load_kernelILj256ELj64ELj64ELN6hipcub17WarpLoadAlgorithmE2EdEvPT3_S3_
    .private_segment_fixed_size: 0
    .sgpr_count:     9
    .sgpr_spill_count: 0
    .symbol:         _Z16warp_load_kernelILj256ELj64ELj64ELN6hipcub17WarpLoadAlgorithmE2EdEvPT3_S3_.kd
    .uniform_work_group_size: 1
    .uses_dynamic_stack: false
    .vgpr_count:     143
    .vgpr_spill_count: 0
    .wavefront_size: 32
    .workgroup_processor_mode: 1
amdhsa.target:   amdgcn-amd-amdhsa--gfx1030
amdhsa.version:
  - 1
  - 2
...

	.end_amdgpu_metadata
